;; amdgpu-corpus repo=ROCm/rocFFT kind=compiled arch=gfx1030 opt=O3
	.text
	.amdgcn_target "amdgcn-amd-amdhsa--gfx1030"
	.amdhsa_code_object_version 6
	.protected	fft_rtc_back_len1625_factors_13_5_5_5_wgs_130_tpt_65_halfLds_sp_op_CI_CI_unitstride_sbrr_dirReg ; -- Begin function fft_rtc_back_len1625_factors_13_5_5_5_wgs_130_tpt_65_halfLds_sp_op_CI_CI_unitstride_sbrr_dirReg
	.globl	fft_rtc_back_len1625_factors_13_5_5_5_wgs_130_tpt_65_halfLds_sp_op_CI_CI_unitstride_sbrr_dirReg
	.p2align	8
	.type	fft_rtc_back_len1625_factors_13_5_5_5_wgs_130_tpt_65_halfLds_sp_op_CI_CI_unitstride_sbrr_dirReg,@function
fft_rtc_back_len1625_factors_13_5_5_5_wgs_130_tpt_65_halfLds_sp_op_CI_CI_unitstride_sbrr_dirReg: ; @fft_rtc_back_len1625_factors_13_5_5_5_wgs_130_tpt_65_halfLds_sp_op_CI_CI_unitstride_sbrr_dirReg
; %bb.0:
	s_clause 0x2
	s_load_dwordx4 s[12:15], s[4:5], 0x0
	s_load_dwordx4 s[8:11], s[4:5], 0x58
	;; [unrolled: 1-line block ×3, first 2 shown]
	v_mul_u32_u24_e32 v1, 0x3f1, v0
	v_mov_b32_e32 v56, 0
	v_mov_b32_e32 v57, 0
	v_lshrrev_b32_e32 v68, 16, v1
	v_mov_b32_e32 v1, 0
	v_lshl_add_u32 v3, s6, 1, v68
	v_mov_b32_e32 v4, v1
	s_waitcnt lgkmcnt(0)
	v_cmp_lt_u64_e64 s0, s[14:15], 2
	s_and_b32 vcc_lo, exec_lo, s0
	s_cbranch_vccnz .LBB0_8
; %bb.1:
	s_load_dwordx2 s[0:1], s[4:5], 0x10
	v_mov_b32_e32 v56, 0
	v_mov_b32_e32 v57, 0
	s_add_u32 s2, s18, 8
	s_addc_u32 s3, s19, 0
	v_mov_b32_e32 v36, v56
	s_add_u32 s6, s16, 8
	v_mov_b32_e32 v37, v57
	s_addc_u32 s7, s17, 0
	s_mov_b64 s[22:23], 1
	s_waitcnt lgkmcnt(0)
	s_add_u32 s20, s0, 8
	s_addc_u32 s21, s1, 0
.LBB0_2:                                ; =>This Inner Loop Header: Depth=1
	s_load_dwordx2 s[24:25], s[20:21], 0x0
                                        ; implicit-def: $vgpr38_vgpr39
	s_mov_b32 s0, exec_lo
	s_waitcnt lgkmcnt(0)
	v_or_b32_e32 v2, s25, v4
	v_cmpx_ne_u64_e32 0, v[1:2]
	s_xor_b32 s1, exec_lo, s0
	s_cbranch_execz .LBB0_4
; %bb.3:                                ;   in Loop: Header=BB0_2 Depth=1
	v_cvt_f32_u32_e32 v2, s24
	v_cvt_f32_u32_e32 v5, s25
	s_sub_u32 s0, 0, s24
	s_subb_u32 s26, 0, s25
	v_fmac_f32_e32 v2, 0x4f800000, v5
	v_rcp_f32_e32 v2, v2
	v_mul_f32_e32 v2, 0x5f7ffffc, v2
	v_mul_f32_e32 v5, 0x2f800000, v2
	v_trunc_f32_e32 v5, v5
	v_fmac_f32_e32 v2, 0xcf800000, v5
	v_cvt_u32_f32_e32 v5, v5
	v_cvt_u32_f32_e32 v2, v2
	v_mul_lo_u32 v6, s0, v5
	v_mul_hi_u32 v7, s0, v2
	v_mul_lo_u32 v8, s26, v2
	v_add_nc_u32_e32 v6, v7, v6
	v_mul_lo_u32 v7, s0, v2
	v_add_nc_u32_e32 v6, v6, v8
	v_mul_hi_u32 v8, v2, v7
	v_mul_lo_u32 v9, v2, v6
	v_mul_hi_u32 v10, v2, v6
	v_mul_hi_u32 v11, v5, v7
	v_mul_lo_u32 v7, v5, v7
	v_mul_hi_u32 v12, v5, v6
	v_mul_lo_u32 v6, v5, v6
	v_add_co_u32 v8, vcc_lo, v8, v9
	v_add_co_ci_u32_e32 v9, vcc_lo, 0, v10, vcc_lo
	v_add_co_u32 v7, vcc_lo, v8, v7
	v_add_co_ci_u32_e32 v7, vcc_lo, v9, v11, vcc_lo
	v_add_co_ci_u32_e32 v8, vcc_lo, 0, v12, vcc_lo
	v_add_co_u32 v6, vcc_lo, v7, v6
	v_add_co_ci_u32_e32 v7, vcc_lo, 0, v8, vcc_lo
	v_add_co_u32 v2, vcc_lo, v2, v6
	v_add_co_ci_u32_e32 v5, vcc_lo, v5, v7, vcc_lo
	v_mul_hi_u32 v6, s0, v2
	v_mul_lo_u32 v8, s26, v2
	v_mul_lo_u32 v7, s0, v5
	v_add_nc_u32_e32 v6, v6, v7
	v_mul_lo_u32 v7, s0, v2
	v_add_nc_u32_e32 v6, v6, v8
	v_mul_hi_u32 v8, v2, v7
	v_mul_lo_u32 v9, v2, v6
	v_mul_hi_u32 v10, v2, v6
	v_mul_hi_u32 v11, v5, v7
	v_mul_lo_u32 v7, v5, v7
	v_mul_hi_u32 v12, v5, v6
	v_mul_lo_u32 v6, v5, v6
	v_add_co_u32 v8, vcc_lo, v8, v9
	v_add_co_ci_u32_e32 v9, vcc_lo, 0, v10, vcc_lo
	v_add_co_u32 v7, vcc_lo, v8, v7
	v_add_co_ci_u32_e32 v7, vcc_lo, v9, v11, vcc_lo
	v_add_co_ci_u32_e32 v8, vcc_lo, 0, v12, vcc_lo
	v_add_co_u32 v6, vcc_lo, v7, v6
	v_add_co_ci_u32_e32 v7, vcc_lo, 0, v8, vcc_lo
	v_add_co_u32 v2, vcc_lo, v2, v6
	v_add_co_ci_u32_e32 v9, vcc_lo, v5, v7, vcc_lo
	v_mul_hi_u32 v11, v3, v2
	v_mad_u64_u32 v[7:8], null, v4, v2, 0
	v_mad_u64_u32 v[5:6], null, v3, v9, 0
	v_mad_u64_u32 v[9:10], null, v4, v9, 0
	v_add_co_u32 v2, vcc_lo, v11, v5
	v_add_co_ci_u32_e32 v5, vcc_lo, 0, v6, vcc_lo
	v_add_co_u32 v2, vcc_lo, v2, v7
	v_add_co_ci_u32_e32 v2, vcc_lo, v5, v8, vcc_lo
	v_add_co_ci_u32_e32 v5, vcc_lo, 0, v10, vcc_lo
	v_add_co_u32 v2, vcc_lo, v2, v9
	v_add_co_ci_u32_e32 v7, vcc_lo, 0, v5, vcc_lo
	v_mul_lo_u32 v8, s25, v2
	v_mad_u64_u32 v[5:6], null, s24, v2, 0
	v_mul_lo_u32 v9, s24, v7
	v_sub_co_u32 v5, vcc_lo, v3, v5
	v_add3_u32 v6, v6, v9, v8
	v_sub_nc_u32_e32 v8, v4, v6
	v_subrev_co_ci_u32_e64 v8, s0, s25, v8, vcc_lo
	v_add_co_u32 v9, s0, v2, 2
	v_add_co_ci_u32_e64 v10, s0, 0, v7, s0
	v_sub_co_u32 v11, s0, v5, s24
	v_sub_co_ci_u32_e32 v6, vcc_lo, v4, v6, vcc_lo
	v_subrev_co_ci_u32_e64 v8, s0, 0, v8, s0
	v_cmp_le_u32_e32 vcc_lo, s24, v11
	v_cmp_eq_u32_e64 s0, s25, v6
	v_cndmask_b32_e64 v11, 0, -1, vcc_lo
	v_cmp_le_u32_e32 vcc_lo, s25, v8
	v_cndmask_b32_e64 v12, 0, -1, vcc_lo
	v_cmp_le_u32_e32 vcc_lo, s24, v5
	;; [unrolled: 2-line block ×3, first 2 shown]
	v_cndmask_b32_e64 v13, 0, -1, vcc_lo
	v_cmp_eq_u32_e32 vcc_lo, s25, v8
	v_cndmask_b32_e64 v5, v13, v5, s0
	v_cndmask_b32_e32 v8, v12, v11, vcc_lo
	v_add_co_u32 v11, vcc_lo, v2, 1
	v_add_co_ci_u32_e32 v12, vcc_lo, 0, v7, vcc_lo
	v_cmp_ne_u32_e32 vcc_lo, 0, v8
	v_cndmask_b32_e32 v6, v12, v10, vcc_lo
	v_cndmask_b32_e32 v8, v11, v9, vcc_lo
	v_cmp_ne_u32_e32 vcc_lo, 0, v5
	v_cndmask_b32_e32 v39, v7, v6, vcc_lo
	v_cndmask_b32_e32 v38, v2, v8, vcc_lo
.LBB0_4:                                ;   in Loop: Header=BB0_2 Depth=1
	s_andn2_saveexec_b32 s0, s1
	s_cbranch_execz .LBB0_6
; %bb.5:                                ;   in Loop: Header=BB0_2 Depth=1
	v_cvt_f32_u32_e32 v2, s24
	s_sub_i32 s1, 0, s24
	v_mov_b32_e32 v39, v1
	v_rcp_iflag_f32_e32 v2, v2
	v_mul_f32_e32 v2, 0x4f7ffffe, v2
	v_cvt_u32_f32_e32 v2, v2
	v_mul_lo_u32 v5, s1, v2
	v_mul_hi_u32 v5, v2, v5
	v_add_nc_u32_e32 v2, v2, v5
	v_mul_hi_u32 v2, v3, v2
	v_mul_lo_u32 v5, v2, s24
	v_add_nc_u32_e32 v6, 1, v2
	v_sub_nc_u32_e32 v5, v3, v5
	v_subrev_nc_u32_e32 v7, s24, v5
	v_cmp_le_u32_e32 vcc_lo, s24, v5
	v_cndmask_b32_e32 v5, v5, v7, vcc_lo
	v_cndmask_b32_e32 v2, v2, v6, vcc_lo
	v_cmp_le_u32_e32 vcc_lo, s24, v5
	v_add_nc_u32_e32 v6, 1, v2
	v_cndmask_b32_e32 v38, v2, v6, vcc_lo
.LBB0_6:                                ;   in Loop: Header=BB0_2 Depth=1
	s_or_b32 exec_lo, exec_lo, s0
	v_mul_lo_u32 v2, v39, s24
	v_mul_lo_u32 v7, v38, s25
	s_load_dwordx2 s[0:1], s[6:7], 0x0
	v_mad_u64_u32 v[5:6], null, v38, s24, 0
	s_load_dwordx2 s[24:25], s[2:3], 0x0
	s_add_u32 s22, s22, 1
	s_addc_u32 s23, s23, 0
	s_add_u32 s2, s2, 8
	s_addc_u32 s3, s3, 0
	s_add_u32 s6, s6, 8
	v_add3_u32 v2, v6, v7, v2
	v_sub_co_u32 v3, vcc_lo, v3, v5
	s_addc_u32 s7, s7, 0
	s_add_u32 s20, s20, 8
	v_sub_co_ci_u32_e32 v2, vcc_lo, v4, v2, vcc_lo
	s_addc_u32 s21, s21, 0
	s_waitcnt lgkmcnt(0)
	v_mul_lo_u32 v4, s0, v2
	v_mul_lo_u32 v5, s1, v3
	v_mad_u64_u32 v[56:57], null, s0, v3, v[56:57]
	v_mul_lo_u32 v2, s24, v2
	v_mul_lo_u32 v6, s25, v3
	v_mad_u64_u32 v[36:37], null, s24, v3, v[36:37]
	v_cmp_ge_u64_e64 s0, s[22:23], s[14:15]
	v_add3_u32 v57, v5, v57, v4
	v_add3_u32 v37, v6, v37, v2
	s_and_b32 vcc_lo, exec_lo, s0
	s_cbranch_vccnz .LBB0_9
; %bb.7:                                ;   in Loop: Header=BB0_2 Depth=1
	v_mov_b32_e32 v3, v38
	v_mov_b32_e32 v4, v39
	s_branch .LBB0_2
.LBB0_8:
	v_mov_b32_e32 v36, v56
	v_mov_b32_e32 v39, v4
	;; [unrolled: 1-line block ×4, first 2 shown]
.LBB0_9:
	s_load_dwordx2 s[0:1], s[4:5], 0x28
	v_mul_hi_u32 v2, 0x3f03f04, v0
	s_lshl_b64 s[4:5], s[14:15], 3
                                        ; implicit-def: $sgpr6
                                        ; implicit-def: $vgpr83
	s_add_u32 s2, s18, s4
	s_addc_u32 s3, s19, s5
	s_waitcnt lgkmcnt(0)
	v_cmp_gt_u64_e32 vcc_lo, s[0:1], v[38:39]
	v_cmp_le_u64_e64 s0, s[0:1], v[38:39]
	s_and_saveexec_b32 s1, s0
	s_xor_b32 s0, exec_lo, s1
; %bb.10:
	v_mul_u32_u24_e32 v1, 0x41, v2
	s_mov_b32 s6, 0
                                        ; implicit-def: $vgpr2
                                        ; implicit-def: $vgpr56_vgpr57
	v_sub_nc_u32_e32 v83, v0, v1
                                        ; implicit-def: $vgpr0
; %bb.11:
	s_or_saveexec_b32 s1, s0
	s_load_dwordx2 s[2:3], s[2:3], 0x0
	v_mov_b32_e32 v9, s6
	v_mov_b32_e32 v8, s6
                                        ; implicit-def: $vgpr47
                                        ; implicit-def: $vgpr55
                                        ; implicit-def: $vgpr53
                                        ; implicit-def: $vgpr43
                                        ; implicit-def: $vgpr35
                                        ; implicit-def: $vgpr31
                                        ; implicit-def: $vgpr27
                                        ; implicit-def: $vgpr25
                                        ; implicit-def: $vgpr23
                                        ; implicit-def: $vgpr15
                                        ; implicit-def: $vgpr11
                                        ; implicit-def: $vgpr5
                                        ; implicit-def: $vgpr1
                                        ; implicit-def: $vgpr19
                                        ; implicit-def: $vgpr21
                                        ; implicit-def: $vgpr17
                                        ; implicit-def: $vgpr13
                                        ; implicit-def: $vgpr7
                                        ; implicit-def: $vgpr3
                                        ; implicit-def: $vgpr49
                                        ; implicit-def: $vgpr51
                                        ; implicit-def: $vgpr45
                                        ; implicit-def: $vgpr41
                                        ; implicit-def: $vgpr33
                                        ; implicit-def: $vgpr29
	s_xor_b32 exec_lo, exec_lo, s1
	s_cbranch_execz .LBB0_15
; %bb.12:
	s_add_u32 s4, s16, s4
	s_addc_u32 s5, s17, s5
	v_mov_b32_e32 v8, 0
	s_load_dwordx2 s[4:5], s[4:5], 0x0
	v_mov_b32_e32 v9, 0
                                        ; implicit-def: $vgpr6
                                        ; implicit-def: $vgpr12
                                        ; implicit-def: $vgpr16
                                        ; implicit-def: $vgpr20
                                        ; implicit-def: $vgpr18
                                        ; implicit-def: $vgpr10
                                        ; implicit-def: $vgpr14
                                        ; implicit-def: $vgpr22
                                        ; implicit-def: $vgpr24
	s_waitcnt lgkmcnt(0)
	v_mul_lo_u32 v1, s5, v38
	v_mul_lo_u32 v5, s4, v39
	v_mad_u64_u32 v[3:4], null, s4, v38, 0
	s_mov_b32 s4, exec_lo
	v_add3_u32 v4, v4, v5, v1
	v_mul_u32_u24_e32 v5, 0x41, v2
	v_lshlrev_b64 v[1:2], 3, v[3:4]
	v_lshlrev_b64 v[3:4], 3, v[56:57]
	v_sub_nc_u32_e32 v83, v0, v5
	v_add_co_u32 v0, s0, s8, v1
	v_add_co_ci_u32_e64 v1, s0, s9, v2, s0
	v_lshlrev_b32_e32 v2, 3, v83
	v_add_co_u32 v0, s0, v0, v3
	v_add_co_ci_u32_e64 v1, s0, v1, v4, s0
                                        ; implicit-def: $vgpr4
	v_add_co_u32 v56, s0, v0, v2
	v_add_co_ci_u32_e64 v57, s0, 0, v1, s0
                                        ; implicit-def: $vgpr2
                                        ; implicit-def: $vgpr0
	v_add_co_u32 v62, s0, 0x800, v56
	v_add_co_ci_u32_e64 v63, s0, 0, v57, s0
	v_add_co_u32 v64, s0, 0x1000, v56
	v_add_co_ci_u32_e64 v65, s0, 0, v57, s0
	;; [unrolled: 2-line block ×5, first 2 shown]
	s_clause 0xc
	global_load_dwordx2 v[46:47], v[56:57], off
	global_load_dwordx2 v[54:55], v[56:57], off offset:1000
	global_load_dwordx2 v[52:53], v[56:57], off offset:2000
	;; [unrolled: 1-line block ×12, first 2 shown]
	v_cmpx_gt_u32_e32 60, v83
; %bb.13:
	s_clause 0x7
	global_load_dwordx2 v[8:9], v[56:57], off offset:520
	global_load_dwordx2 v[24:25], v[56:57], off offset:1520
	global_load_dwordx2 v[22:23], v[62:63], off offset:472
	global_load_dwordx2 v[14:15], v[62:63], off offset:1472
	global_load_dwordx2 v[10:11], v[64:65], off offset:424
	global_load_dwordx2 v[4:5], v[64:65], off offset:1424
	global_load_dwordx2 v[0:1], v[66:67], off offset:376
	global_load_dwordx2 v[2:3], v[66:67], off offset:1376
	v_add_co_u32 v18, s0, 0x3000, v56
	v_add_co_ci_u32_e64 v19, s0, 0, v57, s0
	s_clause 0x4
	global_load_dwordx2 v[6:7], v[58:59], off offset:328
	global_load_dwordx2 v[12:13], v[58:59], off offset:1328
	;; [unrolled: 1-line block ×5, first 2 shown]
; %bb.14:
	s_or_b32 exec_lo, exec_lo, s4
.LBB0_15:
	s_or_b32 exec_lo, exec_lo, s1
	s_waitcnt vmcnt(11)
	v_add_f32_e32 v56, v46, v54
	v_and_b32_e32 v57, 1, v68
	s_waitcnt vmcnt(0)
	v_sub_f32_e32 v59, v55, v49
	v_add_f32_e32 v58, v48, v54
	v_sub_f32_e32 v62, v53, v51
	v_add_f32_e32 v61, v56, v52
	v_cmp_eq_u32_e64 s0, 1, v57
	v_mul_f32_e32 v57, 0xbeedf032, v59
	v_add_f32_e32 v60, v50, v52
	v_mul_f32_e32 v63, 0xbf52af12, v59
	v_add_f32_e32 v61, v61, v42
	v_mul_f32_e32 v64, 0xbf7e222b, v59
	v_mul_f32_e32 v65, 0xbf6f5d39, v59
	;; [unrolled: 1-line block ×4, first 2 shown]
	v_add_f32_e32 v61, v61, v34
	v_mul_f32_e32 v67, 0xbf52af12, v62
	v_fmamk_f32 v70, v58, 0x3f62ad3f, v57
	v_fma_f32 v57, 0x3f62ad3f, v58, -v57
	v_mul_f32_e32 v68, 0xbf6f5d39, v62
	v_add_f32_e32 v61, v61, v30
	v_fmamk_f32 v71, v58, 0x3f116cb1, v63
	v_fma_f32 v63, 0x3f116cb1, v58, -v63
	v_fmamk_f32 v72, v58, 0x3df6dbef, v64
	v_fma_f32 v64, 0x3df6dbef, v58, -v64
	v_add_f32_e32 v61, v61, v26
	v_fmamk_f32 v73, v58, 0xbeb58ec6, v65
	v_fma_f32 v65, 0xbeb58ec6, v58, -v65
	v_fmamk_f32 v74, v58, 0xbf3f9e67, v66
	v_fma_f32 v66, 0xbf3f9e67, v58, -v66
	v_add_f32_e32 v61, v61, v28
	v_fmamk_f32 v75, v58, 0xbf788fa5, v59
	v_fma_f32 v58, 0xbf788fa5, v58, -v59
	v_add_f32_e32 v70, v70, v46
	v_add_f32_e32 v57, v57, v46
	;; [unrolled: 1-line block ×3, first 2 shown]
	v_fmamk_f32 v61, v60, 0x3f116cb1, v67
	v_fma_f32 v67, 0x3f116cb1, v60, -v67
	v_mul_f32_e32 v69, 0xbe750f2a, v62
	v_add_f32_e32 v71, v71, v46
	v_add_f32_e32 v63, v63, v46
	;; [unrolled: 1-line block ×11, first 2 shown]
	v_fma_f32 v61, 0xbeb58ec6, v60, -v68
	v_add_f32_e32 v57, v57, v67
	v_mul_f32_e32 v67, 0x3f29c268, v62
	v_fmamk_f32 v76, v60, 0xbeb58ec6, v68
	v_fmamk_f32 v70, v60, 0xbf788fa5, v69
	v_add_f32_e32 v61, v63, v61
	v_fma_f32 v63, 0xbf788fa5, v60, -v69
	v_fmamk_f32 v69, v60, 0xbf3f9e67, v67
	v_fma_f32 v67, 0xbf3f9e67, v60, -v67
	v_add_f32_e32 v68, v71, v76
	v_mul_f32_e32 v71, 0x3f7e222b, v62
	v_add_f32_e32 v70, v72, v70
	v_add_f32_e32 v63, v64, v63
	;; [unrolled: 1-line block ×3, first 2 shown]
	v_sub_f32_e32 v67, v43, v45
	v_add_f32_e32 v64, v73, v69
	v_fmamk_f32 v69, v60, 0x3df6dbef, v71
	v_mul_f32_e32 v62, 0x3eedf032, v62
	v_fma_f32 v71, 0x3df6dbef, v60, -v71
	v_add_f32_e32 v72, v44, v42
	v_mul_f32_e32 v73, 0xbf7e222b, v67
	v_add_f32_e32 v69, v74, v69
	v_fmamk_f32 v74, v60, 0x3f62ad3f, v62
	v_fma_f32 v60, 0x3f62ad3f, v60, -v62
	v_add_f32_e32 v62, v66, v71
	v_fmamk_f32 v66, v72, 0x3df6dbef, v73
	v_mul_f32_e32 v71, 0xbe750f2a, v67
	v_add_f32_e32 v74, v75, v74
	v_add_f32_e32 v46, v46, v60
	v_fma_f32 v60, 0x3df6dbef, v72, -v73
	v_add_f32_e32 v58, v58, v66
	v_fmamk_f32 v66, v72, 0xbf788fa5, v71
	v_mul_f32_e32 v73, 0x3f6f5d39, v67
	v_fma_f32 v71, 0xbf788fa5, v72, -v71
	v_add_f32_e32 v57, v57, v60
	v_mul_f32_e32 v60, 0x3eedf032, v67
	v_add_f32_e32 v66, v68, v66
	v_fmamk_f32 v68, v72, 0xbeb58ec6, v73
	v_add_f32_e32 v61, v61, v71
	v_fma_f32 v71, 0xbeb58ec6, v72, -v73
	v_fmamk_f32 v73, v72, 0x3f62ad3f, v60
	v_fma_f32 v60, 0x3f62ad3f, v72, -v60
	v_add_f32_e32 v68, v70, v68
	v_mul_f32_e32 v70, 0xbf52af12, v67
	v_add_f32_e32 v63, v63, v71
	v_mul_f32_e32 v67, 0xbf29c268, v67
	v_add_f32_e32 v60, v65, v60
	v_sub_f32_e32 v65, v35, v41
	v_fmamk_f32 v71, v72, 0x3f116cb1, v70
	v_add_f32_e32 v64, v64, v73
	v_fma_f32 v70, 0x3f116cb1, v72, -v70
	v_add_f32_e32 v73, v40, v34
	v_mul_f32_e32 v75, 0xbf6f5d39, v65
	v_add_f32_e32 v69, v69, v71
	v_fmamk_f32 v71, v72, 0xbf3f9e67, v67
	v_fma_f32 v67, 0xbf3f9e67, v72, -v67
	v_add_f32_e32 v62, v62, v70
	v_fmamk_f32 v70, v73, 0xbeb58ec6, v75
	v_mul_f32_e32 v72, 0x3f29c268, v65
	v_add_f32_e32 v71, v74, v71
	v_add_f32_e32 v46, v46, v67
	v_fma_f32 v67, 0xbeb58ec6, v73, -v75
	v_add_f32_e32 v58, v58, v70
	v_fmamk_f32 v70, v73, 0xbf3f9e67, v72
	v_mul_f32_e32 v74, 0x3eedf032, v65
	v_fma_f32 v72, 0xbf3f9e67, v73, -v72
	v_add_f32_e32 v57, v57, v67
	v_mul_f32_e32 v67, 0xbf7e222b, v65
	v_add_f32_e32 v66, v66, v70
	v_fmamk_f32 v70, v73, 0x3f62ad3f, v74
	v_add_f32_e32 v61, v61, v72
	v_fma_f32 v72, 0x3f62ad3f, v73, -v74
	v_fmamk_f32 v74, v73, 0x3df6dbef, v67
	v_fma_f32 v67, 0x3df6dbef, v73, -v67
	v_add_f32_e32 v68, v68, v70
	v_mul_f32_e32 v70, 0x3e750f2a, v65
	v_add_f32_e32 v63, v63, v72
	v_add_f32_e32 v64, v64, v74
	;; [unrolled: 1-line block ×3, first 2 shown]
	v_sub_f32_e32 v67, v31, v33
	v_fmamk_f32 v72, v73, 0xbf788fa5, v70
	v_mul_f32_e32 v65, 0x3f52af12, v65
	v_fma_f32 v70, 0xbf788fa5, v73, -v70
	v_add_f32_e32 v74, v32, v30
	v_mul_f32_e32 v75, 0xbf29c268, v67
	v_add_f32_e32 v69, v69, v72
	v_fmamk_f32 v72, v73, 0x3f116cb1, v65
	v_add_f32_e32 v62, v62, v70
	v_fma_f32 v65, 0x3f116cb1, v73, -v65
	v_fmamk_f32 v70, v74, 0xbf3f9e67, v75
	v_mul_f32_e32 v73, 0x3f7e222b, v67
	v_add_f32_e32 v71, v71, v72
	v_fma_f32 v72, 0xbf3f9e67, v74, -v75
	v_add_f32_e32 v46, v46, v65
	v_add_f32_e32 v58, v58, v70
	v_fmamk_f32 v65, v74, 0x3df6dbef, v73
	v_mul_f32_e32 v70, 0xbf52af12, v67
	v_add_f32_e32 v57, v57, v72
	v_fma_f32 v72, 0x3df6dbef, v74, -v73
	v_mul_f32_e32 v73, 0x3e750f2a, v67
	v_add_f32_e32 v65, v66, v65
	v_fmamk_f32 v66, v74, 0x3f116cb1, v70
	v_fma_f32 v70, 0x3f116cb1, v74, -v70
	v_add_f32_e32 v61, v61, v72
	v_fmamk_f32 v72, v74, 0xbf788fa5, v73
	v_fma_f32 v73, 0xbf788fa5, v74, -v73
	v_add_f32_e32 v66, v68, v66
	v_add_f32_e32 v63, v63, v70
	v_mul_f32_e32 v68, 0x3eedf032, v67
	v_sub_f32_e32 v70, v27, v29
	v_add_f32_e32 v64, v64, v72
	v_add_f32_e32 v60, v60, v73
	v_mul_f32_e32 v67, 0xbf6f5d39, v67
	v_fmamk_f32 v72, v74, 0x3f62ad3f, v68
	v_fma_f32 v68, 0x3f62ad3f, v74, -v68
	v_add_f32_e32 v73, v28, v26
	v_mul_f32_e32 v75, 0xbe750f2a, v70
	v_fmamk_f32 v76, v74, 0xbeb58ec6, v67
	v_add_f32_e32 v69, v69, v72
	v_add_f32_e32 v62, v62, v68
	v_fma_f32 v67, 0xbeb58ec6, v74, -v67
	v_fmamk_f32 v68, v73, 0xbf788fa5, v75
	v_mul_f32_e32 v72, 0x3eedf032, v70
	v_fma_f32 v74, 0xbf788fa5, v73, -v75
	v_add_f32_e32 v59, v40, v59
	v_add_f32_e32 v46, v46, v67
	;; [unrolled: 1-line block ×3, first 2 shown]
	v_mul_f32_e32 v67, 0xbf29c268, v70
	v_fmamk_f32 v68, v73, 0x3f62ad3f, v72
	v_add_f32_e32 v57, v57, v74
	v_mul_f32_e32 v74, 0x3f52af12, v70
	v_fma_f32 v72, 0x3f62ad3f, v73, -v72
	v_fmamk_f32 v75, v73, 0xbf3f9e67, v67
	v_add_f32_e32 v68, v65, v68
	v_fma_f32 v65, 0xbf3f9e67, v73, -v67
	v_fmamk_f32 v67, v73, 0x3f116cb1, v74
	v_add_f32_e32 v59, v44, v59
	v_add_f32_e32 v61, v61, v72
	v_fma_f32 v72, 0x3f116cb1, v73, -v74
	v_add_f32_e32 v63, v63, v65
	v_add_f32_e32 v64, v64, v67
	v_mul_f32_e32 v67, 0x3f7e222b, v70
	v_mul_f32_e32 v65, 0xbf6f5d39, v70
	v_cndmask_b32_e64 v56, 0, 0x659, s0
	v_add_f32_e32 v59, v50, v59
	v_add_f32_e32 v71, v71, v76
	;; [unrolled: 1-line block ×3, first 2 shown]
	v_mad_u32_u24 v70, v83, 52, 0
	v_fmamk_f32 v75, v73, 0x3df6dbef, v67
	v_fma_f32 v67, 0x3df6dbef, v73, -v67
	v_fma_f32 v74, 0xbeb58ec6, v73, -v65
	v_add_f32_e32 v60, v60, v72
	v_fmamk_f32 v72, v73, 0xbeb58ec6, v65
	v_add_f32_e32 v59, v48, v59
	v_lshl_add_u32 v65, v56, 2, v70
	v_add_f32_e32 v70, v71, v75
	v_add_f32_e32 v46, v46, v67
	v_cmp_gt_u32_e64 s0, 60, v83
	v_add_f32_e32 v62, v62, v74
	v_add_f32_e32 v69, v69, v72
	ds_write2_b32 v65, v59, v58 offset1:1
	ds_write2_b32 v65, v68, v66 offset0:2 offset1:3
	ds_write2_b32 v65, v64, v69 offset0:4 offset1:5
	;; [unrolled: 1-line block ×5, first 2 shown]
	ds_write_b32 v65, v57 offset:48
	s_and_saveexec_b32 s1, s0
	s_cbranch_execz .LBB0_17
; %bb.16:
	v_add_f32_e32 v46, v24, v18
	v_sub_f32_e32 v57, v25, v19
	v_add_f32_e32 v58, v22, v20
	v_sub_f32_e32 v59, v23, v21
	v_add_f32_e32 v60, v14, v16
	v_mul_f32_e32 v61, 0xbf788fa5, v46
	v_sub_f32_e32 v62, v15, v17
	v_mul_f32_e32 v66, 0x3f62ad3f, v58
	v_add_f32_e32 v63, v10, v12
	v_mul_f32_e32 v70, 0xbf3f9e67, v60
	v_fmamk_f32 v67, v57, 0x3e750f2a, v61
	v_sub_f32_e32 v64, v11, v13
	v_fmamk_f32 v71, v59, 0xbeedf032, v66
	v_add_f32_e32 v68, v4, v6
	v_mul_f32_e32 v74, 0x3f116cb1, v63
	v_add_f32_e32 v67, v8, v67
	v_fmamk_f32 v75, v62, 0x3f29c268, v70
	v_fmac_f32_e32 v61, 0xbe750f2a, v57
	v_sub_f32_e32 v69, v5, v7
	v_fmamk_f32 v76, v64, 0xbf52af12, v74
	v_add_f32_e32 v67, v67, v71
	v_mul_f32_e32 v71, 0xbeb58ec6, v68
	v_fmac_f32_e32 v66, 0x3eedf032, v59
	v_add_f32_e32 v61, v8, v61
	v_fmac_f32_e32 v70, 0xbf29c268, v62
	v_add_f32_e32 v67, v67, v75
	v_mul_f32_e32 v75, 0xbf3f9e67, v46
	v_fmamk_f32 v77, v69, 0x3f6f5d39, v71
	v_add_f32_e32 v61, v61, v66
	v_mul_f32_e32 v78, 0x3df6dbef, v58
	v_add_f32_e32 v67, v67, v76
	v_fmamk_f32 v76, v57, 0x3f29c268, v75
	v_add_f32_e32 v72, v0, v2
	v_add_f32_e32 v61, v61, v70
	v_fmac_f32_e32 v74, 0x3f52af12, v64
	v_add_f32_e32 v67, v67, v77
	v_add_f32_e32 v70, v8, v76
	v_fmamk_f32 v76, v59, 0xbf7e222b, v78
	v_mul_f32_e32 v77, 0x3f116cb1, v60
	v_sub_f32_e32 v73, v1, v3
	v_mul_f32_e32 v66, 0x3df6dbef, v72
	v_add_f32_e32 v61, v61, v74
	v_fmac_f32_e32 v71, 0xbf6f5d39, v69
	v_add_f32_e32 v70, v70, v76
	v_fmamk_f32 v74, v62, 0x3f52af12, v77
	v_mul_f32_e32 v76, 0xbf788fa5, v63
	v_fmamk_f32 v79, v73, 0xbf7e222b, v66
	v_add_f32_e32 v61, v61, v71
	v_fmac_f32_e32 v75, 0xbf29c268, v57
	v_add_f32_e32 v70, v70, v74
	v_fmamk_f32 v71, v64, 0xbe750f2a, v76
	v_mul_f32_e32 v74, 0x3f62ad3f, v68
	v_add_f32_e32 v67, v67, v79
	v_fmac_f32_e32 v66, 0x3f7e222b, v73
	v_add_f32_e32 v75, v8, v75
	v_fmac_f32_e32 v78, 0x3f7e222b, v59
	v_add_f32_e32 v70, v70, v71
	v_fmamk_f32 v71, v69, 0xbeedf032, v74
	v_mul_f32_e32 v79, 0xbeb58ec6, v46
	v_add_f32_e32 v61, v61, v66
	v_add_f32_e32 v66, v75, v78
	v_fmac_f32_e32 v77, 0xbf52af12, v62
	v_add_f32_e32 v70, v70, v71
	v_fmamk_f32 v71, v57, 0x3f6f5d39, v79
	v_mul_f32_e32 v75, 0xbf3f9e67, v58
	v_fmac_f32_e32 v76, 0x3e750f2a, v64
	v_add_f32_e32 v66, v66, v77
	v_mul_f32_e32 v80, 0x3f62ad3f, v60
	v_add_f32_e32 v71, v8, v71
	v_fmamk_f32 v77, v59, 0xbf29c268, v75
	v_mul_f32_e32 v78, 0xbeb58ec6, v72
	v_add_f32_e32 v66, v66, v76
	v_fmac_f32_e32 v74, 0x3eedf032, v69
	v_fmamk_f32 v76, v62, 0xbeedf032, v80
	v_add_f32_e32 v71, v71, v77
	v_mul_f32_e32 v77, 0x3df6dbef, v63
	v_fmamk_f32 v81, v73, 0x3f6f5d39, v78
	v_add_f32_e32 v66, v66, v74
	v_fmac_f32_e32 v79, 0xbf6f5d39, v57
	v_add_f32_e32 v71, v71, v76
	v_fmamk_f32 v74, v64, 0x3f7e222b, v77
	v_mul_f32_e32 v76, 0xbf788fa5, v68
	v_add_f32_e32 v70, v70, v81
	v_fmac_f32_e32 v78, 0xbf6f5d39, v73
	v_add_f32_e32 v79, v8, v79
	v_fmac_f32_e32 v75, 0x3f29c268, v59
	v_add_f32_e32 v71, v71, v74
	v_fmamk_f32 v74, v69, 0xbe750f2a, v76
	v_mul_f32_e32 v81, 0x3df6dbef, v46
	v_add_f32_e32 v66, v66, v78
	v_add_f32_e32 v75, v79, v75
	v_fmac_f32_e32 v80, 0x3eedf032, v62
	v_add_f32_e32 v71, v71, v74
	v_fmamk_f32 v74, v57, 0x3f7e222b, v81
	v_mul_f32_e32 v78, 0xbf788fa5, v58
	v_fmac_f32_e32 v77, 0xbf7e222b, v64
	v_add_f32_e32 v75, v75, v80
	v_mul_f32_e32 v82, 0xbeb58ec6, v60
	v_add_f32_e32 v74, v8, v74
	v_fmamk_f32 v80, v59, 0x3e750f2a, v78
	v_mul_f32_e32 v79, 0x3f116cb1, v72
	v_add_f32_e32 v75, v75, v77
	v_fmac_f32_e32 v76, 0x3e750f2a, v69
	v_fmamk_f32 v77, v62, 0xbf6f5d39, v82
	v_add_f32_e32 v74, v74, v80
	v_mul_f32_e32 v80, 0x3f62ad3f, v63
	v_fmamk_f32 v84, v73, 0xbf52af12, v79
	v_add_f32_e32 v75, v75, v76
	v_fmac_f32_e32 v81, 0xbf7e222b, v57
	v_add_f32_e32 v74, v74, v77
	v_fmamk_f32 v76, v64, 0xbeedf032, v80
	v_mul_f32_e32 v77, 0x3f116cb1, v68
	v_fmac_f32_e32 v79, 0x3f52af12, v73
	v_add_f32_e32 v81, v8, v81
	v_fmac_f32_e32 v78, 0xbe750f2a, v59
	v_add_f32_e32 v74, v74, v76
	v_fmamk_f32 v76, v69, 0x3f52af12, v77
	v_add_f32_e32 v75, v75, v79
	v_mul_f32_e32 v79, 0x3f116cb1, v46
	v_add_f32_e32 v71, v71, v84
	v_add_f32_e32 v78, v81, v78
	v_fmac_f32_e32 v82, 0x3f6f5d39, v62
	v_add_f32_e32 v74, v74, v76
	v_mul_f32_e32 v76, 0xbf3f9e67, v72
	v_fmamk_f32 v81, v57, 0x3f52af12, v79
	v_mul_f32_e32 v84, 0xbeb58ec6, v58
	v_add_f32_e32 v78, v78, v82
	v_fmac_f32_e32 v80, 0x3eedf032, v64
	v_fmamk_f32 v82, v73, 0x3f29c268, v76
	v_add_f32_e32 v81, v8, v81
	v_fmamk_f32 v85, v59, 0x3f6f5d39, v84
	v_mul_f32_e32 v86, 0xbf788fa5, v60
	v_add_f32_e32 v78, v78, v80
	v_fmac_f32_e32 v77, 0xbf52af12, v69
	v_add_f32_e32 v74, v74, v82
	v_add_f32_e32 v80, v81, v85
	v_fmamk_f32 v81, v62, 0x3e750f2a, v86
	v_mul_f32_e32 v82, 0xbf3f9e67, v63
	v_add_f32_e32 v77, v78, v77
	v_fmac_f32_e32 v79, 0xbf52af12, v57
	v_add_f32_e32 v85, v8, v24
	;; [unrolled: 6-line block ×3, first 2 shown]
	v_add_f32_e32 v78, v78, v80
	v_fmamk_f32 v80, v69, 0xbf7e222b, v81
	v_fmac_f32_e32 v86, 0xbe750f2a, v62
	v_add_f32_e32 v79, v79, v84
	v_mul_f32_e32 v46, 0x3f62ad3f, v46
	v_fmac_f32_e32 v82, 0x3f29c268, v64
	v_add_f32_e32 v78, v78, v80
	v_add_f32_e32 v80, v85, v14
	;; [unrolled: 1-line block ×3, first 2 shown]
	v_mul_f32_e32 v58, 0x3f116cb1, v58
	v_fmamk_f32 v85, v57, 0x3eedf032, v46
	v_fmac_f32_e32 v46, 0xbeedf032, v57
	v_add_f32_e32 v80, v80, v10
	v_add_f32_e32 v57, v79, v82
	v_mul_f32_e32 v60, 0x3df6dbef, v60
	v_mul_f32_e32 v63, 0xbeb58ec6, v63
	v_add_f32_e32 v46, v8, v46
	v_add_f32_e32 v79, v80, v4
	v_fmamk_f32 v80, v59, 0x3f52af12, v58
	v_fmac_f32_e32 v58, 0xbf52af12, v59
	v_add_f32_e32 v8, v8, v85
	v_mul_f32_e32 v87, 0x3f62ad3f, v72
	v_add_f32_e32 v59, v79, v0
	v_fmamk_f32 v79, v62, 0x3f7e222b, v60
	v_add_f32_e32 v46, v46, v58
	v_fmac_f32_e32 v60, 0xbf7e222b, v62
	v_add_f32_e32 v8, v8, v80
	v_add_f32_e32 v58, v59, v2
	v_fmamk_f32 v59, v64, 0x3f6f5d39, v63
	v_mul_f32_e32 v62, 0xbf3f9e67, v68
	v_add_f32_e32 v46, v46, v60
	v_fmac_f32_e32 v63, 0xbf6f5d39, v64
	v_add_f32_e32 v58, v6, v58
	v_add_f32_e32 v8, v8, v79
	v_fmamk_f32 v60, v69, 0x3f29c268, v62
	v_mul_f32_e32 v64, 0xbf788fa5, v72
	v_add_f32_e32 v46, v46, v63
	v_add_f32_e32 v58, v12, v58
	v_fmac_f32_e32 v62, 0xbf29c268, v69
	v_fmac_f32_e32 v81, 0x3f7e222b, v69
	v_add_f32_e32 v8, v8, v59
	v_fmamk_f32 v59, v73, 0x3e750f2a, v64
	v_add_f32_e32 v58, v16, v58
	v_add_f32_e32 v46, v46, v62
	v_fmac_f32_e32 v64, 0xbe750f2a, v73
	v_fmac_f32_e32 v76, 0xbf29c268, v73
	v_fmamk_f32 v84, v73, 0xbeedf032, v87
	v_add_f32_e32 v58, v20, v58
	v_add_f32_e32 v57, v57, v81
	v_fmac_f32_e32 v87, 0x3eedf032, v73
	v_add_f32_e32 v8, v8, v60
	v_add_f32_e32 v46, v46, v64
	;; [unrolled: 1-line block ×3, first 2 shown]
	v_add_nc_u32_e32 v60, 0xd34, v65
	v_add_f32_e32 v62, v77, v76
	v_add_f32_e32 v57, v57, v87
	;; [unrolled: 1-line block ×3, first 2 shown]
	v_add_nc_u32_e32 v59, 0xd4c, v65
	ds_write2_b32 v60, v58, v46 offset1:1
	v_add_nc_u32_e32 v46, 0xd3c, v65
	v_add_nc_u32_e32 v58, 0xd44, v65
	;; [unrolled: 1-line block ×3, first 2 shown]
	v_add_f32_e32 v63, v78, v84
	v_add_nc_u32_e32 v64, 0xd5c, v65
	ds_write2_b32 v46, v57, v62 offset1:1
	ds_write2_b32 v58, v75, v66 offset1:1
	;; [unrolled: 1-line block ×5, first 2 shown]
	ds_write_b32 v65, v8 offset:3428
.LBB0_17:
	s_or_b32 exec_lo, exec_lo, s1
	v_add_f32_e32 v8, v47, v55
	v_sub_f32_e32 v46, v54, v48
	v_add_f32_e32 v48, v49, v55
	v_add_f32_e32 v54, v51, v53
	v_sub_f32_e32 v50, v52, v50
	v_add_f32_e32 v8, v8, v53
	v_mul_f32_e32 v53, 0xbf52af12, v46
	v_mul_f32_e32 v52, 0xbeedf032, v46
	;; [unrolled: 1-line block ×4, first 2 shown]
	v_add_f32_e32 v8, v8, v43
	v_fma_f32 v64, 0x3f116cb1, v48, -v53
	v_fmac_f32_e32 v53, 0x3f116cb1, v48
	v_mul_f32_e32 v57, 0xbf6f5d39, v46
	v_mul_f32_e32 v58, 0xbf29c268, v46
	v_add_f32_e32 v8, v8, v35
	v_mul_f32_e32 v46, 0xbe750f2a, v46
	v_mul_f32_e32 v59, 0xbf52af12, v50
	v_fma_f32 v63, 0x3f62ad3f, v48, -v52
	v_fmac_f32_e32 v52, 0x3f62ad3f, v48
	v_add_f32_e32 v8, v8, v31
	v_fma_f32 v70, 0xbeb58ec6, v54, -v60
	v_fmac_f32_e32 v60, 0xbeb58ec6, v54
	v_add_f32_e32 v53, v53, v47
	v_mul_f32_e32 v61, 0xbe750f2a, v50
	v_add_f32_e32 v8, v8, v27
	v_fma_f32 v66, 0x3df6dbef, v48, -v55
	v_fmac_f32_e32 v55, 0x3df6dbef, v48
	v_fma_f32 v67, 0xbeb58ec6, v48, -v57
	v_fmac_f32_e32 v57, 0xbeb58ec6, v48
	v_add_f32_e32 v8, v8, v29
	v_fma_f32 v68, 0xbf3f9e67, v48, -v58
	v_fmac_f32_e32 v58, 0xbf3f9e67, v48
	v_fma_f32 v69, 0xbf788fa5, v48, -v46
	v_fmac_f32_e32 v46, 0xbf788fa5, v48
	v_add_f32_e32 v8, v33, v8
	v_fma_f32 v48, 0x3f116cb1, v54, -v59
	v_fmac_f32_e32 v59, 0x3f116cb1, v54
	v_add_f32_e32 v63, v63, v47
	v_add_f32_e32 v52, v52, v47
	;; [unrolled: 1-line block ×4, first 2 shown]
	v_mul_f32_e32 v60, 0x3f7e222b, v50
	v_sub_f32_e32 v42, v42, v44
	v_mul_f32_e32 v62, 0x3f29c268, v50
	v_add_f32_e32 v8, v45, v8
	v_add_f32_e32 v64, v64, v47
	;; [unrolled: 1-line block ×13, first 2 shown]
	v_fma_f32 v52, 0xbf788fa5, v54, -v61
	v_fmac_f32_e32 v61, 0xbf788fa5, v54
	v_fma_f32 v44, 0x3df6dbef, v54, -v60
	v_mul_f32_e32 v50, 0x3eedf032, v50
	v_fmac_f32_e32 v60, 0x3df6dbef, v54
	v_add_f32_e32 v43, v45, v43
	v_mul_f32_e32 v45, 0xbf7e222b, v42
	v_fma_f32 v59, 0xbf3f9e67, v54, -v62
	v_fmac_f32_e32 v62, 0xbf3f9e67, v54
	v_add_f32_e32 v55, v55, v61
	v_fma_f32 v61, 0x3f62ad3f, v54, -v50
	v_fmac_f32_e32 v50, 0x3f62ad3f, v54
	v_add_f32_e32 v54, v58, v60
	v_fma_f32 v58, 0x3df6dbef, v43, -v45
	v_mul_f32_e32 v60, 0xbe750f2a, v42
	v_add_f32_e32 v8, v49, v8
	v_add_f32_e32 v49, v64, v70
	;; [unrolled: 1-line block ×4, first 2 shown]
	v_fma_f32 v50, 0xbf788fa5, v43, -v60
	v_mul_f32_e32 v58, 0x3f6f5d39, v42
	v_add_f32_e32 v52, v66, v52
	v_fmac_f32_e32 v45, 0x3df6dbef, v43
	v_sub_f32_e32 v34, v34, v40
	v_add_f32_e32 v49, v49, v50
	v_fma_f32 v50, 0xbeb58ec6, v43, -v58
	v_add_f32_e32 v44, v68, v44
	v_fmac_f32_e32 v60, 0xbf788fa5, v43
	v_add_f32_e32 v45, v48, v45
	v_mul_f32_e32 v48, 0x3eedf032, v42
	v_add_f32_e32 v50, v52, v50
	v_mul_f32_e32 v52, 0xbf52af12, v42
	v_mul_f32_e32 v42, 0xbf29c268, v42
	v_add_f32_e32 v35, v41, v35
	v_mul_f32_e32 v41, 0xbf6f5d39, v34
	v_add_f32_e32 v53, v53, v60
	v_fma_f32 v40, 0x3f116cb1, v43, -v52
	v_fmac_f32_e32 v52, 0x3f116cb1, v43
	v_fmac_f32_e32 v58, 0xbeb58ec6, v43
	v_fma_f32 v60, 0x3f62ad3f, v43, -v48
	v_fmac_f32_e32 v48, 0x3f62ad3f, v43
	v_add_f32_e32 v40, v44, v40
	v_fma_f32 v44, 0xbf3f9e67, v43, -v42
	v_add_f32_e32 v52, v54, v52
	v_fmac_f32_e32 v42, 0xbf3f9e67, v43
	v_fma_f32 v43, 0xbeb58ec6, v35, -v41
	v_mul_f32_e32 v54, 0x3f29c268, v34
	v_fmac_f32_e32 v41, 0xbeb58ec6, v35
	v_add_f32_e32 v57, v57, v62
	v_add_f32_e32 v51, v51, v61
	;; [unrolled: 1-line block ×4, first 2 shown]
	v_fma_f32 v46, 0xbf3f9e67, v35, -v54
	v_mul_f32_e32 v47, 0x3eedf032, v34
	v_add_f32_e32 v41, v45, v41
	v_fmac_f32_e32 v54, 0xbf3f9e67, v35
	v_mul_f32_e32 v45, 0xbf7e222b, v34
	v_add_f32_e32 v48, v57, v48
	v_add_f32_e32 v44, v51, v44
	;; [unrolled: 1-line block ×3, first 2 shown]
	v_fma_f32 v49, 0x3f62ad3f, v35, -v47
	v_add_f32_e32 v51, v53, v54
	v_fma_f32 v53, 0x3df6dbef, v35, -v45
	v_fmac_f32_e32 v45, 0x3df6dbef, v35
	v_sub_f32_e32 v30, v30, v32
	v_mul_f32_e32 v32, 0x3f52af12, v34
	v_add_f32_e32 v49, v50, v49
	v_mul_f32_e32 v50, 0x3e750f2a, v34
	v_add_f32_e32 v45, v48, v45
	v_add_f32_e32 v31, v33, v31
	v_mul_f32_e32 v33, 0xbf29c268, v30
	v_fma_f32 v48, 0x3f116cb1, v35, -v32
	v_fmac_f32_e32 v32, 0x3f116cb1, v35
	v_add_f32_e32 v55, v55, v58
	v_fmac_f32_e32 v47, 0x3f62ad3f, v35
	v_fma_f32 v34, 0xbf788fa5, v35, -v50
	v_fmac_f32_e32 v50, 0xbf788fa5, v35
	v_fma_f32 v35, 0xbf3f9e67, v31, -v33
	v_add_f32_e32 v44, v44, v48
	v_mul_f32_e32 v48, 0x3f7e222b, v30
	v_fmac_f32_e32 v33, 0xbf3f9e67, v31
	v_add_f32_e32 v32, v42, v32
	v_mul_f32_e32 v42, 0xbf52af12, v30
	v_add_f32_e32 v47, v55, v47
	v_add_f32_e32 v34, v40, v34
	;; [unrolled: 1-line block ×4, first 2 shown]
	v_fma_f32 v43, 0x3df6dbef, v31, -v48
	v_add_f32_e32 v33, v41, v33
	v_fmac_f32_e32 v48, 0x3df6dbef, v31
	v_mul_f32_e32 v41, 0x3e750f2a, v30
	v_fma_f32 v50, 0x3f116cb1, v31, -v42
	v_fmac_f32_e32 v42, 0x3f116cb1, v31
	v_add_f32_e32 v43, v46, v43
	v_add_f32_e32 v46, v51, v48
	v_fma_f32 v48, 0xbf788fa5, v31, -v41
	v_fmac_f32_e32 v41, 0xbf788fa5, v31
	v_add_f32_e32 v42, v47, v42
	v_mul_f32_e32 v47, 0x3eedf032, v30
	v_mul_f32_e32 v30, 0xbf6f5d39, v30
	v_sub_f32_e32 v26, v26, v28
	v_add_f32_e32 v66, v45, v41
	v_add_f32_e32 v27, v29, v27
	v_fma_f32 v28, 0x3f62ad3f, v31, -v47
	v_fmac_f32_e32 v47, 0x3f62ad3f, v31
	v_fma_f32 v41, 0xbeb58ec6, v31, -v30
	v_mul_f32_e32 v29, 0xbe750f2a, v26
	v_fmac_f32_e32 v30, 0xbeb58ec6, v31
	v_add_f32_e32 v28, v34, v28
	v_add_f32_e32 v31, v40, v47
	;; [unrolled: 1-line block ×3, first 2 shown]
	v_fma_f32 v40, 0xbf788fa5, v27, -v29
	v_mul_f32_e32 v41, 0x3eedf032, v26
	v_add_f32_e32 v59, v67, v59
	v_fmac_f32_e32 v29, 0xbf788fa5, v27
	v_lshlrev_b32_e32 v89, 2, v56
	v_add_f32_e32 v35, v35, v40
	v_fma_f32 v40, 0x3f62ad3f, v27, -v41
	v_add_f32_e32 v58, v59, v60
	v_add_f32_e32 v30, v32, v30
	v_mul_f32_e32 v32, 0xbf29c268, v26
	v_fmac_f32_e32 v41, 0x3f62ad3f, v27
	v_add_f32_e32 v67, v43, v40
	v_lshlrev_b32_e32 v40, 2, v83
	v_add_f32_e32 v53, v58, v53
	v_add_f32_e32 v29, v33, v29
	v_mul_f32_e32 v33, 0x3f52af12, v26
	v_add_f32_e32 v49, v49, v50
	v_add3_u32 v85, 0, v40, v89
	v_add_f32_e32 v48, v53, v48
	v_fma_f32 v44, 0xbf3f9e67, v27, -v32
	v_add_f32_e32 v68, v46, v41
	v_fmac_f32_e32 v32, 0xbf3f9e67, v27
	v_fma_f32 v41, 0x3f116cb1, v27, -v33
	v_add3_u32 v84, 0, v89, v40
	v_add_nc_u32_e32 v88, 0x800, v85
	v_add_nc_u32_e32 v90, 0xe00, v85
	;; [unrolled: 1-line block ×11, first 2 shown]
	v_add_f32_e32 v69, v49, v44
	v_add_f32_e32 v32, v42, v32
	v_add_f32_e32 v71, v48, v41
	s_waitcnt lgkmcnt(0)
	s_barrier
	buffer_gl0_inv
	ds_read_b32 v102, v84
	ds_read2_b32 v[63:64], v87 offset0:69 offset1:134
	ds_read2_b32 v[59:60], v88 offset0:73 offset1:138
	;; [unrolled: 1-line block ×12, first 2 shown]
	v_mul_f32_e32 v70, 0xbf6f5d39, v26
	v_mul_f32_e32 v26, 0x3f7e222b, v26
	v_fmac_f32_e32 v33, 0x3f116cb1, v27
	v_add_nc_u32_e32 v86, 0x41, v83
	s_waitcnt lgkmcnt(0)
	v_fma_f32 v72, 0xbeb58ec6, v27, -v70
	v_fma_f32 v73, 0x3df6dbef, v27, -v26
	v_fmac_f32_e32 v26, 0x3df6dbef, v27
	v_fmac_f32_e32 v70, 0xbeb58ec6, v27
	v_add_f32_e32 v27, v66, v33
	v_add_f32_e32 v28, v28, v72
	;; [unrolled: 1-line block ×5, first 2 shown]
	s_barrier
	buffer_gl0_inv
	ds_write2_b32 v65, v8, v35 offset1:1
	ds_write2_b32 v65, v67, v69 offset0:2 offset1:3
	ds_write2_b32 v65, v71, v28 offset0:4 offset1:5
	;; [unrolled: 1-line block ×5, first 2 shown]
	ds_write_b32 v65, v29 offset:48
	s_and_saveexec_b32 s1, s0
	s_cbranch_execz .LBB0_19
; %bb.18:
	v_add_f32_e32 v8, v9, v25
	v_sub_f32_e32 v18, v24, v18
	v_add_f32_e32 v24, v25, v19
	v_add_f32_e32 v25, v23, v21
	v_sub_f32_e32 v20, v22, v20
	v_add_f32_e32 v8, v8, v23
	v_mul_f32_e32 v23, 0xbf52af12, v18
	v_mul_f32_e32 v22, 0xbeedf032, v18
	v_mul_f32_e32 v26, 0xbf7e222b, v18
	v_mul_f32_e32 v30, 0xbf6f5d39, v20
	v_add_f32_e32 v8, v8, v15
	v_fma_f32 v34, 0x3f116cb1, v24, -v23
	v_fmac_f32_e32 v23, 0x3f116cb1, v24
	v_mul_f32_e32 v27, 0xbf6f5d39, v18
	v_mul_f32_e32 v28, 0xbf29c268, v18
	v_add_f32_e32 v8, v8, v11
	v_mul_f32_e32 v18, 0xbe750f2a, v18
	v_mul_f32_e32 v29, 0xbf52af12, v20
	v_fma_f32 v33, 0x3f62ad3f, v24, -v22
	v_fma_f32 v68, 0xbeb58ec6, v25, -v30
	v_add_f32_e32 v8, v8, v5
	v_fmac_f32_e32 v30, 0xbeb58ec6, v25
	v_add_f32_e32 v23, v9, v23
	v_mul_f32_e32 v31, 0xbe750f2a, v20
	v_fmac_f32_e32 v22, 0x3f62ad3f, v24
	v_add_f32_e32 v8, v8, v1
	v_fma_f32 v35, 0x3df6dbef, v24, -v26
	v_fmac_f32_e32 v26, 0x3df6dbef, v24
	v_fma_f32 v65, 0xbeb58ec6, v24, -v27
	v_fmac_f32_e32 v27, 0xbeb58ec6, v24
	v_add_f32_e32 v8, v8, v3
	v_fma_f32 v66, 0xbf3f9e67, v24, -v28
	v_fmac_f32_e32 v28, 0xbf3f9e67, v24
	v_fma_f32 v67, 0xbf788fa5, v24, -v18
	v_fmac_f32_e32 v18, 0xbf788fa5, v24
	v_add_f32_e32 v8, v7, v8
	v_fma_f32 v24, 0x3f116cb1, v25, -v29
	v_add_f32_e32 v33, v9, v33
	v_add_f32_e32 v23, v23, v30
	v_mul_f32_e32 v30, 0x3f7e222b, v20
	v_add_f32_e32 v8, v13, v8
	v_sub_f32_e32 v14, v14, v16
	v_mul_f32_e32 v32, 0x3f29c268, v20
	v_fmac_f32_e32 v29, 0x3f116cb1, v25
	v_add_f32_e32 v22, v9, v22
	v_add_f32_e32 v8, v17, v8
	;; [unrolled: 1-line block ×13, first 2 shown]
	v_fma_f32 v24, 0xbf788fa5, v25, -v31
	v_fmac_f32_e32 v31, 0xbf788fa5, v25
	v_fma_f32 v16, 0x3df6dbef, v25, -v30
	v_mul_f32_e32 v20, 0x3eedf032, v20
	v_fmac_f32_e32 v30, 0x3df6dbef, v25
	v_add_f32_e32 v15, v15, v17
	v_mul_f32_e32 v17, 0xbf7e222b, v14
	v_add_f32_e32 v22, v22, v29
	v_fma_f32 v29, 0xbf3f9e67, v25, -v32
	v_fmac_f32_e32 v32, 0xbf3f9e67, v25
	v_add_f32_e32 v26, v26, v31
	v_fma_f32 v31, 0x3f62ad3f, v25, -v20
	v_fmac_f32_e32 v20, 0x3f62ad3f, v25
	v_add_f32_e32 v25, v28, v30
	v_fma_f32 v28, 0x3df6dbef, v15, -v17
	v_mul_f32_e32 v30, 0xbe750f2a, v14
	v_add_f32_e32 v8, v19, v8
	v_add_f32_e32 v19, v34, v68
	;; [unrolled: 1-line block ×4, first 2 shown]
	v_fma_f32 v20, 0xbf788fa5, v15, -v30
	v_mul_f32_e32 v28, 0x3f6f5d39, v14
	v_add_f32_e32 v24, v35, v24
	v_fmac_f32_e32 v17, 0x3df6dbef, v15
	v_sub_f32_e32 v10, v10, v12
	v_add_f32_e32 v19, v19, v20
	v_fma_f32 v20, 0xbeb58ec6, v15, -v28
	v_add_f32_e32 v16, v66, v16
	v_fmac_f32_e32 v30, 0xbf788fa5, v15
	v_add_f32_e32 v17, v22, v17
	v_mul_f32_e32 v22, 0x3eedf032, v14
	v_add_f32_e32 v20, v24, v20
	v_mul_f32_e32 v24, 0xbf52af12, v14
	v_mul_f32_e32 v14, 0xbf29c268, v14
	v_add_f32_e32 v11, v11, v13
	v_mul_f32_e32 v13, 0xbf6f5d39, v10
	v_add_f32_e32 v23, v23, v30
	v_fma_f32 v12, 0x3f116cb1, v15, -v24
	v_fmac_f32_e32 v24, 0x3f116cb1, v15
	v_fmac_f32_e32 v28, 0xbeb58ec6, v15
	v_fma_f32 v30, 0x3f62ad3f, v15, -v22
	v_fmac_f32_e32 v22, 0x3f62ad3f, v15
	v_add_f32_e32 v12, v16, v12
	v_fma_f32 v16, 0xbf3f9e67, v15, -v14
	v_add_f32_e32 v24, v25, v24
	v_fmac_f32_e32 v14, 0xbf3f9e67, v15
	v_fma_f32 v15, 0xbeb58ec6, v11, -v13
	v_mul_f32_e32 v25, 0x3f29c268, v10
	v_fmac_f32_e32 v13, 0xbeb58ec6, v11
	v_add_f32_e32 v27, v27, v32
	v_add_f32_e32 v9, v9, v14
	;; [unrolled: 1-line block ×3, first 2 shown]
	v_fma_f32 v15, 0xbf3f9e67, v11, -v25
	v_mul_f32_e32 v18, 0x3eedf032, v10
	v_add_f32_e32 v21, v21, v31
	v_add_f32_e32 v13, v17, v13
	v_fmac_f32_e32 v25, 0xbf3f9e67, v11
	v_mul_f32_e32 v17, 0xbf7e222b, v10
	v_add_f32_e32 v15, v19, v15
	v_fma_f32 v19, 0x3f62ad3f, v11, -v18
	v_sub_f32_e32 v4, v4, v6
	v_add_f32_e32 v22, v27, v22
	v_add_f32_e32 v16, v21, v16
	;; [unrolled: 1-line block ×3, first 2 shown]
	v_fma_f32 v23, 0x3df6dbef, v11, -v17
	v_fmac_f32_e32 v17, 0x3df6dbef, v11
	v_add_f32_e32 v19, v20, v19
	v_mul_f32_e32 v20, 0x3e750f2a, v10
	v_mul_f32_e32 v6, 0x3f52af12, v10
	v_add_f32_e32 v5, v5, v7
	v_mul_f32_e32 v7, 0xbf29c268, v4
	v_fmac_f32_e32 v18, 0x3f62ad3f, v11
	v_add_f32_e32 v17, v22, v17
	v_fma_f32 v10, 0xbf788fa5, v11, -v20
	v_fmac_f32_e32 v20, 0xbf788fa5, v11
	v_fma_f32 v22, 0x3f116cb1, v11, -v6
	v_fmac_f32_e32 v6, 0x3f116cb1, v11
	v_fma_f32 v11, 0xbf3f9e67, v5, -v7
	v_add_f32_e32 v26, v26, v28
	v_add_f32_e32 v10, v12, v10
	;; [unrolled: 1-line block ×3, first 2 shown]
	v_mul_f32_e32 v20, 0x3f7e222b, v4
	v_fmac_f32_e32 v7, 0xbf3f9e67, v5
	v_add_f32_e32 v6, v9, v6
	v_add_f32_e32 v9, v14, v11
	v_mul_f32_e32 v11, 0xbf52af12, v4
	v_add_f32_e32 v18, v26, v18
	v_add_f32_e32 v16, v16, v22
	v_fma_f32 v14, 0x3df6dbef, v5, -v20
	v_add_f32_e32 v7, v13, v7
	v_fmac_f32_e32 v20, 0x3df6dbef, v5
	v_mul_f32_e32 v13, 0x3e750f2a, v4
	v_fma_f32 v22, 0x3f116cb1, v5, -v11
	v_fmac_f32_e32 v11, 0x3f116cb1, v5
	v_add_f32_e32 v14, v15, v14
	v_add_f32_e32 v15, v21, v20
	v_fma_f32 v20, 0xbf788fa5, v5, -v13
	v_fmac_f32_e32 v13, 0xbf788fa5, v5
	v_add_f32_e32 v11, v18, v11
	v_mul_f32_e32 v18, 0x3eedf032, v4
	v_mul_f32_e32 v4, 0xbf6f5d39, v4
	v_sub_f32_e32 v0, v0, v2
	v_add_f32_e32 v13, v17, v13
	v_add_f32_e32 v1, v1, v3
	v_fma_f32 v2, 0x3f62ad3f, v5, -v18
	v_fmac_f32_e32 v18, 0x3f62ad3f, v5
	v_fma_f32 v17, 0xbeb58ec6, v5, -v4
	v_mul_f32_e32 v3, 0xbe750f2a, v0
	v_fmac_f32_e32 v4, 0xbeb58ec6, v5
	v_add_f32_e32 v29, v65, v29
	v_add_f32_e32 v2, v10, v2
	;; [unrolled: 1-line block ×4, first 2 shown]
	v_fma_f32 v12, 0xbf788fa5, v1, -v3
	v_mul_f32_e32 v16, 0x3eedf032, v0
	v_fmac_f32_e32 v3, 0xbf788fa5, v1
	v_add_f32_e32 v4, v6, v4
	v_mul_f32_e32 v6, 0xbf29c268, v0
	v_add_f32_e32 v28, v29, v30
	v_add_f32_e32 v9, v9, v12
	v_fma_f32 v12, 0x3f62ad3f, v1, -v16
	v_add_f32_e32 v3, v7, v3
	v_fmac_f32_e32 v16, 0x3f62ad3f, v1
	v_fma_f32 v7, 0xbf3f9e67, v1, -v6
	v_mul_f32_e32 v17, 0x3f52af12, v0
	v_fmac_f32_e32 v6, 0xbf3f9e67, v1
	v_add_f32_e32 v23, v28, v23
	v_add_f32_e32 v12, v14, v12
	;; [unrolled: 1-line block ×3, first 2 shown]
	v_fma_f32 v15, 0x3f116cb1, v1, -v17
	v_fmac_f32_e32 v17, 0x3f116cb1, v1
	v_add_f32_e32 v6, v11, v6
	v_mul_f32_e32 v11, 0xbf6f5d39, v0
	v_mul_f32_e32 v0, 0x3f7e222b, v0
	v_mul_u32_u24_e32 v16, 52, v86
	v_add_f32_e32 v19, v19, v22
	v_add_f32_e32 v20, v23, v20
	;; [unrolled: 1-line block ×3, first 2 shown]
	v_fma_f32 v17, 0xbeb58ec6, v1, -v11
	v_fma_f32 v18, 0x3df6dbef, v1, -v0
	v_fmac_f32_e32 v0, 0x3df6dbef, v1
	v_fmac_f32_e32 v11, 0xbeb58ec6, v1
	v_add3_u32 v1, 0, v16, v89
	v_add_f32_e32 v7, v19, v7
	v_add_f32_e32 v15, v20, v15
	;; [unrolled: 1-line block ×6, first 2 shown]
	ds_write2_b32 v1, v8, v9 offset1:1
	ds_write2_b32 v1, v12, v7 offset0:2 offset1:3
	ds_write2_b32 v1, v15, v2 offset0:4 offset1:5
	;; [unrolled: 1-line block ×5, first 2 shown]
	ds_write_b32 v1, v3 offset:48
.LBB0_19:
	s_or_b32 exec_lo, exec_lo, s1
	v_and_b32_e32 v0, 0xff, v83
	v_and_b32_e32 v1, 0xff, v86
	v_add_nc_u32_e32 v101, 0x104, v83
	v_add_nc_u32_e32 v99, 0xc3, v83
	v_mov_b32_e32 v103, 5
	v_mul_lo_u16 v0, 0x4f, v0
	v_mul_lo_u16 v1, 0x4f, v1
	v_add_nc_u32_e32 v100, 0x82, v83
	s_waitcnt lgkmcnt(0)
	s_barrier
	v_lshrrev_b16 v105, 10, v0
	v_lshrrev_b16 v104, 10, v1
	v_mov_b32_e32 v1, 0x4ec5
	v_and_b32_e32 v106, 0xff, v100
	buffer_gl0_inv
	v_mul_lo_u16 v0, v105, 13
	v_mul_lo_u16 v2, v104, 13
	v_mul_lo_u16 v25, 0x4f, v106
	v_sub_nc_u16 v109, v83, v0
	v_mul_u32_u24_sdwa v0, v101, v1 dst_sel:DWORD dst_unused:UNUSED_PAD src0_sel:WORD_0 src1_sel:DWORD
	v_sub_nc_u16 v110, v86, v2
	v_lshrrev_b16 v113, 10, v25
	v_lshlrev_b32_sdwa v12, v103, v109 dst_sel:DWORD dst_unused:UNUSED_PAD src0_sel:DWORD src1_sel:BYTE_0
	v_lshrrev_b32_e32 v107, 18, v0
	v_mul_u32_u24_sdwa v0, v99, v1 dst_sel:DWORD dst_unused:UNUSED_PAD src0_sel:WORD_0 src1_sel:DWORD
	v_lshlrev_b32_sdwa v13, v103, v110 dst_sel:DWORD dst_unused:UNUSED_PAD src0_sel:DWORD src1_sel:BYTE_0
	v_mul_lo_u16 v28, v113, 13
	s_clause 0x1
	global_load_dwordx4 v[119:122], v12, s[12:13]
	global_load_dwordx4 v[16:19], v12, s[12:13] offset:16
	v_mul_lo_u16 v1, v107, 13
	v_lshrrev_b32_e32 v108, 18, v0
	global_load_dwordx4 v[8:11], v13, s[12:13]
	v_sub_nc_u16 v115, v100, v28
	v_sub_nc_u16 v111, v101, v1
	v_mul_lo_u16 v0, v108, 13
	v_lshlrev_b32_sdwa v32, v103, v115 dst_sel:DWORD dst_unused:UNUSED_PAD src0_sel:DWORD src1_sel:BYTE_0
	v_lshlrev_b32_sdwa v20, v103, v111 dst_sel:DWORD dst_unused:UNUSED_PAD src0_sel:DWORD src1_sel:WORD_0
	v_sub_nc_u16 v112, v99, v0
	global_load_dwordx4 v[4:7], v20, s[12:13]
	v_lshlrev_b32_sdwa v24, v103, v112 dst_sel:DWORD dst_unused:UNUSED_PAD src0_sel:DWORD src1_sel:WORD_0
	s_clause 0x5
	global_load_dwordx4 v[12:15], v13, s[12:13] offset:16
	global_load_dwordx4 v[20:23], v20, s[12:13] offset:16
	global_load_dwordx4 v[0:3], v24, s[12:13]
	global_load_dwordx4 v[24:27], v24, s[12:13] offset:16
	global_load_dwordx4 v[28:31], v32, s[12:13]
	global_load_dwordx4 v[32:35], v32, s[12:13] offset:16
	ds_read2_b32 v[123:124], v87 offset0:69 offset1:134
	ds_read2_b32 v[125:126], v88 offset0:73 offset1:138
	;; [unrolled: 1-line block ×10, first 2 shown]
	ds_read_b32 v114, v84
	s_waitcnt vmcnt(9) lgkmcnt(10)
	v_mul_f32_e32 v118, v123, v120
	v_mul_f32_e32 v65, v63, v120
	s_waitcnt lgkmcnt(9)
	v_mul_f32_e32 v116, v126, v122
	v_mul_f32_e32 v66, v60, v122
	s_waitcnt vmcnt(7)
	v_mul_f32_e32 v117, v124, v9
	v_fmac_f32_e32 v118, v63, v119
	v_fma_f32 v63, v123, v119, -v65
	s_waitcnt lgkmcnt(8)
	v_mul_f32_e32 v119, v67, v11
	v_mul_f32_e32 v11, v47, v11
	v_fmac_f32_e32 v116, v60, v121
	v_fma_f32 v60, v126, v121, -v66
	ds_read2_b32 v[65:66], v85 offset0:65 offset1:130
	v_fmac_f32_e32 v119, v47, v10
	v_fma_f32 v10, v67, v10, -v11
	v_mul_f32_e32 v9, v64, v9
	v_fmac_f32_e32 v117, v64, v8
	s_waitcnt vmcnt(6)
	v_mul_f32_e32 v120, v125, v5
	v_mul_f32_e32 v5, v59, v5
	s_waitcnt lgkmcnt(8)
	v_mul_f32_e32 v11, v82, v7
	v_mul_f32_e32 v7, v62, v7
	v_fma_f32 v64, v124, v8, -v9
	v_fmac_f32_e32 v120, v59, v4
	s_waitcnt vmcnt(3)
	v_mul_f32_e32 v47, v81, v3
	v_mul_f32_e32 v3, v61, v3
	s_waitcnt lgkmcnt(7)
	v_mul_f32_e32 v59, v72, v1
	v_fma_f32 v4, v125, v4, -v5
	v_mul_f32_e32 v1, v52, v1
	s_waitcnt lgkmcnt(6)
	v_mul_f32_e32 v5, v77, v17
	v_fmac_f32_e32 v11, v62, v6
	v_fma_f32 v6, v82, v6, -v7
	v_mul_f32_e32 v7, v55, v17
	s_waitcnt lgkmcnt(5)
	v_mul_f32_e32 v17, v76, v19
	v_mul_f32_e32 v19, v54, v19
	;; [unrolled: 1-line block ×3, first 2 shown]
	v_fmac_f32_e32 v47, v61, v2
	v_mul_f32_e32 v13, v56, v13
	s_waitcnt lgkmcnt(4)
	v_mul_f32_e32 v61, v69, v15
	v_fma_f32 v2, v81, v2, -v3
	v_mul_f32_e32 v3, v45, v15
	v_mul_f32_e32 v15, v75, v21
	v_fmac_f32_e32 v59, v52, v0
	v_fma_f32 v0, v72, v0, -v1
	v_mul_f32_e32 v1, v53, v21
	s_waitcnt lgkmcnt(3)
	v_mul_f32_e32 v21, v80, v23
	v_mul_f32_e32 v23, v58, v23
	v_fmac_f32_e32 v5, v55, v16
	v_fma_f32 v7, v77, v16, -v7
	v_fma_f32 v16, v76, v18, -v19
	s_waitcnt vmcnt(2) lgkmcnt(2)
	v_mul_f32_e32 v19, v74, v25
	v_mul_f32_e32 v25, v50, v25
	ds_read2_b32 v[8:9], v96 offset0:67 offset1:132
	v_mul_f32_e32 v52, v79, v27
	v_fmac_f32_e32 v17, v54, v18
	v_mul_f32_e32 v18, v57, v27
	v_fmac_f32_e32 v62, v56, v12
	v_fma_f32 v12, v78, v12, -v13
	v_fmac_f32_e32 v21, v58, v22
	v_fma_f32 v13, v80, v22, -v23
	;; [unrolled: 2-line block ×3, first 2 shown]
	s_waitcnt vmcnt(1)
	v_mul_f32_e32 v23, v68, v31
	v_mul_f32_e32 v24, v48, v31
	v_fmac_f32_e32 v61, v45, v14
	v_fma_f32 v3, v69, v14, -v3
	v_fmac_f32_e32 v15, v53, v20
	v_fma_f32 v1, v75, v20, -v1
	;; [unrolled: 2-line block ×3, first 2 shown]
	v_mul_f32_e32 v18, v71, v29
	v_mul_f32_e32 v20, v51, v29
	s_waitcnt vmcnt(0)
	v_mul_f32_e32 v25, v73, v33
	v_mul_f32_e32 v26, v49, v33
	;; [unrolled: 1-line block ×4, first 2 shown]
	v_fmac_f32_e32 v23, v48, v30
	v_fma_f32 v24, v68, v30, -v24
	v_add_f32_e32 v30, v116, v5
	v_add_f32_e32 v33, v118, v17
	v_fmac_f32_e32 v18, v51, v28
	v_fma_f32 v20, v71, v28, -v20
	v_fmac_f32_e32 v25, v49, v32
	v_fmac_f32_e32 v27, v46, v34
	v_fma_f32 v28, v70, v34, -v29
	v_add_f32_e32 v29, v102, v118
	v_sub_f32_e32 v34, v116, v118
	v_sub_f32_e32 v35, v5, v17
	s_waitcnt lgkmcnt(2)
	v_add_f32_e32 v45, v114, v63
	v_sub_f32_e32 v48, v63, v60
	v_sub_f32_e32 v49, v16, v7
	v_add_f32_e32 v124, v41, v117
	v_fma_f32 v30, -0.5, v30, v102
	v_fmac_f32_e32 v102, -0.5, v33
	s_waitcnt lgkmcnt(1)
	v_add_f32_e32 v33, v65, v64
	v_fma_f32 v26, v73, v32, -v26
	v_sub_f32_e32 v31, v118, v116
	v_sub_f32_e32 v32, v17, v5
	v_add_f32_e32 v46, v60, v7
	v_add_f32_e32 v50, v63, v16
	v_sub_f32_e32 v51, v60, v63
	v_sub_f32_e32 v56, v119, v117
	v_sub_f32_e32 v57, v62, v61
	v_sub_f32_e32 v58, v64, v10
	v_sub_f32_e32 v68, v10, v64
	v_sub_f32_e32 v69, v12, v3
	v_sub_f32_e32 v76, v2, v0
	v_sub_f32_e32 v77, v22, v14
	v_sub_f32_e32 v82, v11, v120
	v_sub_f32_e32 v121, v15, v21
	v_sub_f32_e32 v123, v116, v5
	v_sub_f32_e32 v125, v60, v7
	v_add_f32_e32 v34, v34, v35
	v_sub_f32_e32 v35, v10, v12
	v_add_f32_e32 v48, v48, v49
	v_add_f32_e32 v49, v10, v12
	;; [unrolled: 1-line block ×6, first 2 shown]
	v_sub_f32_e32 v33, v18, v23
	v_sub_f32_e32 v116, v27, v25
	;; [unrolled: 1-line block ×7, first 2 shown]
	v_add_f32_e32 v122, v44, v120
	v_add_f32_e32 v126, v119, v62
	;; [unrolled: 1-line block ×3, first 2 shown]
	v_sub_f32_e32 v32, v119, v62
	v_fma_f32 v46, -0.5, v46, v114
	v_fmac_f32_e32 v114, -0.5, v50
	v_add_f32_e32 v50, v43, v59
	v_add_f32_e32 v56, v56, v57
	s_waitcnt lgkmcnt(0)
	v_add_f32_e32 v57, v8, v0
	v_add_f32_e32 v68, v68, v69
	;; [unrolled: 1-line block ×4, first 2 shown]
	v_sub_f32_e32 v77, v0, v14
	v_add_f32_e32 v0, v0, v14
	v_add_f32_e32 v82, v82, v121
	;; [unrolled: 1-line block ×6, first 2 shown]
	v_sub_f32_e32 v29, v20, v24
	v_add_f32_e32 v7, v45, v7
	v_sub_f32_e32 v45, v28, v26
	v_add_f32_e32 v60, v60, v62
	v_add_f32_e32 v62, v24, v26
	;; [unrolled: 1-line block ×6, first 2 shown]
	v_sub_f32_e32 v70, v59, v47
	v_sub_f32_e32 v72, v47, v59
	;; [unrolled: 1-line block ×3, first 2 shown]
	v_add_f32_e32 v51, v51, v53
	v_add_f32_e32 v53, v47, v19
	;; [unrolled: 1-line block ×3, first 2 shown]
	v_sub_f32_e32 v55, v47, v19
	v_add_f32_e32 v58, v58, v67
	v_sub_f32_e32 v67, v2, v22
	v_add_f32_e32 v47, v50, v47
	;; [unrolled: 2-line block ×3, first 2 shown]
	v_sub_f32_e32 v57, v25, v27
	v_fma_f32 v119, -0.5, v119, v42
	v_fmac_f32_e32 v42, -0.5, v121
	v_sub_f32_e32 v121, v24, v20
	v_add_f32_e32 v29, v29, v45
	v_sub_f32_e32 v45, v23, v25
	v_fma_f32 v128, -0.5, v62, v66
	v_fmac_f32_e32 v66, -0.5, v12
	v_sub_f32_e32 v12, v24, v26
	v_fma_f32 v129, -0.5, v69, v8
	v_fma_f32 v8, -0.5, v0, v8
	v_sub_f32_e32 v0, v18, v27
	v_sub_f32_e32 v18, v20, v28
	v_add_f32_e32 v20, v122, v11
	v_add_f32_e32 v23, v124, v23
	;; [unrolled: 1-line block ×4, first 2 shown]
	v_sub_f32_e32 v73, v64, v3
	v_add_f32_e32 v64, v64, v3
	v_add_f32_e32 v50, v50, v57
	v_sub_f32_e32 v57, v26, v28
	v_add_f32_e32 v2, v2, v22
	v_add_f32_e32 v20, v20, v15
	;; [unrolled: 1-line block ×5, first 2 shown]
	v_fmamk_f32 v24, v12, 0x3f737871, v42
	v_fmac_f32_e32 v42, 0xbf737871, v12
	v_fmamk_f32 v26, v45, 0xbf737871, v66
	v_fmac_f32_e32 v66, 0x3f737871, v45
	v_sub_f32_e32 v75, v14, v22
	v_add_f32_e32 v14, v2, v14
	v_fmamk_f32 v2, v18, 0xbf737871, v119
	v_fmac_f32_e32 v119, 0x3f737871, v18
	v_fmamk_f32 v25, v0, 0x3f737871, v128
	v_fmac_f32_e32 v128, 0xbf737871, v0
	v_fmac_f32_e32 v24, 0xbf167918, v18
	;; [unrolled: 1-line block ×5, first 2 shown]
	v_add_f32_e32 v0, v20, v21
	v_add_f32_e32 v18, v9, v4
	;; [unrolled: 1-line block ×3, first 2 shown]
	v_sub_f32_e32 v71, v52, v19
	v_fmac_f32_e32 v2, 0xbf167918, v12
	v_fmac_f32_e32 v119, 0x3f167918, v12
	v_add_f32_e32 v12, v23, v28
	v_add_f32_e32 v18, v18, v6
	v_fma_f32 v28, -0.5, v20, v9
	v_add_f32_e32 v20, v4, v13
	v_sub_f32_e32 v79, v21, v15
	v_add_f32_e32 v81, v120, v21
	v_add_f32_e32 v70, v70, v71
	;; [unrolled: 1-line block ×3, first 2 shown]
	v_sub_f32_e32 v117, v117, v61
	v_fma_f32 v49, -0.5, v49, v65
	v_add_f32_e32 v3, v3, v27
	v_sub_f32_e32 v21, v120, v21
	v_sub_f32_e32 v23, v4, v6
	;; [unrolled: 1-line block ×4, first 2 shown]
	v_add_f32_e32 v80, v11, v15
	v_sub_f32_e32 v11, v11, v15
	v_add_f32_e32 v18, v18, v1
	v_fmac_f32_e32 v9, -0.5, v20
	v_sub_f32_e32 v63, v63, v16
	v_fma_f32 v127, -0.5, v64, v65
	v_fmamk_f32 v116, v117, 0x3f737871, v49
	v_fmac_f32_e32 v49, 0xbf737871, v117
	v_fmac_f32_e32 v25, 0x3f167918, v45
	;; [unrolled: 1-line block ×3, first 2 shown]
	v_add_f32_e32 v15, v23, v27
	v_fmamk_f32 v23, v21, 0x3f737871, v28
	v_fmac_f32_e32 v28, 0xbf737871, v21
	v_add_f32_e32 v78, v78, v79
	v_sub_f32_e32 v79, v4, v13
	v_fma_f32 v80, -0.5, v80, v44
	v_fmac_f32_e32 v44, -0.5, v81
	v_sub_f32_e32 v81, v6, v1
	v_sub_f32_e32 v4, v6, v4
	v_add_f32_e32 v18, v18, v13
	v_sub_f32_e32 v1, v1, v13
	v_fmamk_f32 v13, v11, 0xbf737871, v9
	v_fmac_f32_e32 v9, 0x3f737871, v11
	v_fma_f32 v126, -0.5, v126, v41
	v_fma_f32 v41, -0.5, v71, v41
	v_fmamk_f32 v22, v63, 0xbf737871, v30
	v_fmamk_f32 v124, v32, 0xbf737871, v127
	v_fmac_f32_e32 v127, 0x3f737871, v32
	v_fmac_f32_e32 v116, 0x3f167918, v32
	;; [unrolled: 1-line block ×6, first 2 shown]
	v_mov_b32_e32 v29, 2
	v_fmac_f32_e32 v28, 0xbf167918, v11
	v_and_b32_e32 v32, 0xffff, v105
	v_add_f32_e32 v74, v74, v75
	v_add_f32_e32 v75, v59, v52
	v_fmac_f32_e32 v13, 0x3f167918, v21
	v_add_f32_e32 v1, v4, v1
	v_fmac_f32_e32 v9, 0xbf167918, v21
	v_and_b32_e32 v4, 0xffff, v104
	v_sub_f32_e32 v118, v118, v17
	v_add_f32_e32 v19, v47, v19
	v_fmamk_f32 v47, v125, 0x3f737871, v102
	v_fmac_f32_e32 v102, 0xbf737871, v125
	v_add_f32_e32 v5, v5, v17
	v_fmamk_f32 v17, v35, 0x3f737871, v41
	v_fmac_f32_e32 v41, 0xbf737871, v35
	v_fmac_f32_e32 v22, 0xbf167918, v125
	v_lshlrev_b32_sdwa v6, v29, v109 dst_sel:DWORD dst_unused:UNUSED_PAD src0_sel:DWORD src1_sel:BYTE_0
	v_fmac_f32_e32 v23, 0x3e9e377a, v15
	v_fmac_f32_e32 v28, 0x3e9e377a, v15
	v_mad_u32_u24 v15, 0x104, v32, 0
	v_fma_f32 v53, -0.5, v53, v43
	v_fmac_f32_e32 v30, 0x3f737871, v63
	v_fma_f32 v43, -0.5, v75, v43
	v_fmamk_f32 v62, v73, 0xbf737871, v126
	v_sub_f32_e32 v59, v59, v52
	v_fmamk_f32 v122, v123, 0xbf737871, v114
	v_fmac_f32_e32 v114, 0x3f737871, v123
	v_fmac_f32_e32 v126, 0x3f737871, v73
	v_fmac_f32_e32 v13, 0x3e9e377a, v1
	v_fmac_f32_e32 v9, 0x3e9e377a, v1
	v_mad_u32_u24 v1, 0x104, v4, 0
	v_and_b32_e32 v4, 0xffff, v113
	v_add_f32_e32 v57, v121, v57
	v_fmamk_f32 v121, v118, 0x3f737871, v46
	v_fmac_f32_e32 v47, 0xbf167918, v63
	v_fmac_f32_e32 v102, 0x3f167918, v63
	v_add_f32_e32 v60, v60, v61
	v_fmamk_f32 v61, v55, 0xbf737871, v8
	v_fmac_f32_e32 v8, 0x3f737871, v55
	v_fmac_f32_e32 v17, 0xbf167918, v73
	;; [unrolled: 1-line block ×4, first 2 shown]
	v_lshlrev_b32_sdwa v11, v29, v110 dst_sel:DWORD dst_unused:UNUSED_PAD src0_sel:DWORD src1_sel:BYTE_0
	v_add3_u32 v15, v15, v6, v89
	v_fmac_f32_e32 v30, 0x3f167918, v125
	v_add_f32_e32 v7, v7, v16
	v_fmamk_f32 v16, v77, 0xbf737871, v53
	v_fmac_f32_e32 v46, 0xbf737871, v118
	v_fmamk_f32 v63, v67, 0x3f737871, v43
	v_fmac_f32_e32 v43, 0xbf737871, v67
	v_fmac_f32_e32 v62, 0xbf167918, v35
	v_fmac_f32_e32 v53, 0x3f737871, v77
	v_fmac_f32_e32 v122, 0x3f167918, v118
	v_fmac_f32_e32 v114, 0xbf167918, v118
	v_fmamk_f32 v118, v59, 0x3f737871, v129
	v_fmac_f32_e32 v126, 0x3f167918, v35
	v_fmamk_f32 v35, v79, 0xbf737871, v80
	v_fmamk_f32 v64, v81, 0x3f737871, v44
	v_lshlrev_b32_sdwa v20, v29, v115 dst_sel:DWORD dst_unused:UNUSED_PAD src0_sel:DWORD src1_sel:BYTE_0
	v_mad_u32_u24 v4, 0x104, v4, 0
	v_fmac_f32_e32 v121, 0x3f167918, v123
	v_fmac_f32_e32 v129, 0xbf737871, v59
	;; [unrolled: 1-line block ×10, first 2 shown]
	v_lshlrev_b32_sdwa v27, v29, v112 dst_sel:DWORD dst_unused:UNUSED_PAD src0_sel:DWORD src1_sel:WORD_0
	s_barrier
	buffer_gl0_inv
	v_add3_u32 v1, v1, v11, v89
	ds_write2_b32 v15, v5, v22 offset1:13
	v_mad_u32_u24 v5, 0x104, v108, 0
	v_fmac_f32_e32 v16, 0xbf167918, v67
	v_fmac_f32_e32 v30, 0x3e9e377a, v31
	v_fmac_f32_e32 v46, 0xbf167918, v123
	v_fmac_f32_e32 v63, 0xbf167918, v77
	v_fmac_f32_e32 v43, 0x3f167918, v77
	v_fmac_f32_e32 v62, 0x3e9e377a, v54
	v_fmac_f32_e32 v53, 0x3f167918, v67
	v_fmac_f32_e32 v118, 0x3f167918, v55
	v_fmac_f32_e32 v124, 0x3f167918, v117
	v_fmac_f32_e32 v127, 0xbf167918, v117
	v_fmac_f32_e32 v35, 0xbf167918, v81
	v_fmac_f32_e32 v64, 0xbf167918, v79
	v_lshlrev_b32_sdwa v31, v29, v111 dst_sel:DWORD dst_unused:UNUSED_PAD src0_sel:DWORD src1_sel:WORD_0
	v_add3_u32 v11, v4, v20, v89
	v_mad_u32_u24 v4, 0x104, v107, 0
	v_fmac_f32_e32 v129, 0xbf167918, v55
	v_fmac_f32_e32 v80, 0x3f167918, v81
	;; [unrolled: 1-line block ×9, first 2 shown]
	ds_write2_b32 v15, v47, v102 offset0:26 offset1:39
	ds_write_b32 v15, v30 offset:208
	ds_write2_b32 v1, v60, v62 offset1:13
	ds_write2_b32 v1, v17, v41 offset0:26 offset1:39
	v_add3_u32 v17, v5, v27, v89
	v_add_f32_e32 v19, v19, v52
	v_fmac_f32_e32 v122, 0x3e9e377a, v51
	v_fmac_f32_e32 v114, 0x3e9e377a, v51
	;; [unrolled: 1-line block ×17, first 2 shown]
	v_add3_u32 v22, v4, v31, v89
	v_fmac_f32_e32 v49, 0x3e9e377a, v58
	v_fmac_f32_e32 v129, 0x3e9e377a, v74
	;; [unrolled: 1-line block ×4, first 2 shown]
	ds_write_b32 v1, v126 offset:208
	ds_write2_b32 v11, v3, v2 offset1:13
	ds_write2_b32 v11, v24, v42 offset0:26 offset1:39
	ds_write_b32 v11, v119 offset:208
	ds_write2_b32 v17, v19, v16 offset1:13
	ds_write2_b32 v17, v63, v43 offset0:26 offset1:39
	;; [unrolled: 3-line block ×3, first 2 shown]
	ds_write_b32 v22, v80 offset:208
	s_waitcnt lgkmcnt(0)
	s_barrier
	buffer_gl0_inv
	ds_read_b32 v6, v84
	ds_read2_b32 v[20:21], v87 offset0:69 offset1:134
	ds_read2_b32 v[34:35], v88 offset0:73 offset1:138
	ds_read2_b32 v[62:63], v90 offset0:79 offset1:144
	ds_read2_b32 v[64:65], v91 offset0:83 offset1:148
	ds_read2_b32 v[4:5], v85 offset0:65 offset1:130
	ds_read2_b32 v[67:68], v92 offset0:75 offset1:140
	ds_read2_b32 v[69:70], v93 offset0:85 offset1:150
	ds_read2_b32 v[71:72], v94 offset0:71 offset1:136
	ds_read2_b32 v[73:74], v95 offset0:81 offset1:146
	ds_read2_b32 v[2:3], v96 offset0:67 offset1:132
	ds_read2_b32 v[75:76], v97 offset0:77 offset1:142
	ds_read2_b32 v[77:78], v98 offset0:87 offset1:152
	s_waitcnt lgkmcnt(0)
	s_barrier
	buffer_gl0_inv
	ds_write2_b32 v15, v7, v121 offset1:13
	ds_write2_b32 v15, v122, v114 offset0:26 offset1:39
	ds_write_b32 v15, v46 offset:208
	ds_write2_b32 v1, v10, v116 offset1:13
	ds_write2_b32 v1, v124, v127 offset0:26 offset1:39
	ds_write_b32 v1, v49 offset:208
	;; [unrolled: 3-line block ×3, first 2 shown]
	ds_write2_b32 v17, v14, v118 offset1:13
	ds_write2_b32 v17, v61, v8 offset0:26 offset1:39
	v_mul_lo_u16 v7, 0xfd, v106
	v_mov_b32_e32 v8, 0xfc1
	ds_write_b32 v17, v129 offset:208
	ds_write2_b32 v22, v18, v23 offset1:13
	ds_write2_b32 v22, v13, v9 offset0:26 offset1:39
	v_mov_b32_e32 v41, 0
	ds_write_b32 v22, v28 offset:208
	v_lshrrev_b16 v7, 14, v7
	v_mul_u32_u24_sdwa v9, v99, v8 dst_sel:DWORD dst_unused:UNUSED_PAD src0_sel:WORD_0 src1_sel:DWORD
	v_mul_u32_u24_sdwa v8, v101, v8 dst_sel:DWORD dst_unused:UNUSED_PAD src0_sel:WORD_0 src1_sel:DWORD
	v_lshlrev_b64 v[0:1], 3, v[40:41]
	s_waitcnt lgkmcnt(0)
	v_mul_lo_u16 v7, 0x41, v7
	v_lshrrev_b32_e32 v9, 18, v9
	v_lshrrev_b32_e32 v8, 18, v8
	s_barrier
	v_add_co_u32 v0, s0, s12, v0
	v_sub_nc_u16 v10, v100, v7
	v_mul_lo_u16 v7, 0x41, v9
	v_mul_lo_u16 v8, 0x41, v8
	v_add_co_ci_u32_e64 v1, s0, s13, v1, s0
	v_lshlrev_b32_sdwa v9, v103, v10 dst_sel:DWORD dst_unused:UNUSED_PAD src0_sel:DWORD src1_sel:BYTE_0
	v_sub_nc_u16 v7, v99, v7
	v_sub_nc_u16 v12, v101, v8
	buffer_gl0_inv
	s_clause 0x1
	global_load_dwordx4 v[16:19], v[0:1], off offset:416
	global_load_dwordx4 v[24:27], v9, s[12:13] offset:416
	v_lshlrev_b32_sdwa v11, v103, v7 dst_sel:DWORD dst_unused:UNUSED_PAD src0_sel:DWORD src1_sel:WORD_0
	v_lshlrev_b32_sdwa v8, v103, v12 dst_sel:DWORD dst_unused:UNUSED_PAD src0_sel:DWORD src1_sel:WORD_0
	s_clause 0x5
	global_load_dwordx4 v[30:33], v11, s[12:13] offset:416
	global_load_dwordx4 v[42:45], v8, s[12:13] offset:416
	global_load_dwordx4 v[46:49], v[0:1], off offset:432
	global_load_dwordx4 v[50:53], v9, s[12:13] offset:432
	global_load_dwordx4 v[54:57], v11, s[12:13] offset:432
	;; [unrolled: 1-line block ×3, first 2 shown]
	ds_read2_b32 v[79:80], v87 offset0:69 offset1:134
	ds_read2_b32 v[81:82], v88 offset0:73 offset1:138
	;; [unrolled: 1-line block ×3, first 2 shown]
	v_lshlrev_b32_sdwa v8, v29, v7 dst_sel:DWORD dst_unused:UNUSED_PAD src0_sel:DWORD src1_sel:WORD_0
	v_lshlrev_b32_sdwa v7, v29, v12 dst_sel:DWORD dst_unused:UNUSED_PAD src0_sel:DWORD src1_sel:WORD_0
	v_lshlrev_b32_sdwa v9, v29, v10 dst_sel:DWORD dst_unused:UNUSED_PAD src0_sel:DWORD src1_sel:BYTE_0
	ds_read2_b32 v[104:105], v94 offset0:71 offset1:136
	ds_read2_b32 v[106:107], v97 offset0:77 offset1:142
	;; [unrolled: 1-line block ×7, first 2 shown]
	ds_read_b32 v29, v84
	ds_read2_b32 v[11:12], v85 offset0:65 offset1:130
	ds_read2_b32 v[13:14], v96 offset0:67 offset1:132
	s_waitcnt vmcnt(0) lgkmcnt(0)
	s_barrier
	buffer_gl0_inv
	v_mul_f32_e32 v40, v79, v17
	v_mul_f32_e32 v66, v80, v17
	;; [unrolled: 1-line block ×16, first 2 shown]
	v_fmac_f32_e32 v40, v20, v16
	v_mul_f32_e32 v15, v81, v43
	v_mul_f32_e32 v20, v34, v43
	v_fma_f32 v43, v79, v16, -v10
	v_fma_f32 v79, v80, v16, -v17
	v_fmac_f32_e32 v119, v67, v18
	v_fma_f32 v67, v102, v18, -v19
	v_mul_f32_e32 v80, v108, v47
	v_mul_f32_e32 v19, v62, v47
	;; [unrolled: 1-line block ×3, first 2 shown]
	v_fmac_f32_e32 v120, v68, v26
	v_mul_f32_e32 v68, v65, v49
	v_fmac_f32_e32 v66, v21, v16
	v_mul_f32_e32 v10, v107, v45
	v_mul_f32_e32 v45, v76, v45
	v_fmac_f32_e32 v118, v35, v18
	v_fma_f32 v35, v82, v18, -v28
	v_mul_f32_e32 v82, v109, v47
	v_mul_f32_e32 v47, v63, v47
	v_fma_f32 v103, v103, v26, -v27
	v_mul_f32_e32 v122, v112, v49
	v_mul_f32_e32 v27, v69, v49
	v_fmac_f32_e32 v121, v71, v24
	v_fma_f32 v49, v104, v24, -v25
	v_mul_f32_e32 v71, v113, v53
	v_mul_f32_e32 v53, v70, v53
	;; [unrolled: 1-line block ×4, first 2 shown]
	v_fmac_f32_e32 v23, v72, v30
	v_mul_f32_e32 v26, v115, v55
	v_mul_f32_e32 v55, v74, v55
	v_fma_f32 v24, v105, v30, -v31
	v_mul_f32_e32 v28, v116, v57
	v_mul_f32_e32 v30, v77, v57
	v_fmac_f32_e32 v22, v75, v32
	v_fma_f32 v25, v106, v32, -v33
	v_mul_f32_e32 v21, v117, v61
	v_mul_f32_e32 v32, v78, v61
	v_fmac_f32_e32 v15, v34, v42
	v_fma_f32 v16, v81, v42, -v20
	v_fmac_f32_e32 v80, v62, v46
	v_fma_f32 v33, v108, v46, -v19
	;; [unrolled: 2-line block ×5, first 2 shown]
	v_fma_f32 v44, v112, v48, -v27
	v_fma_f32 v45, v113, v52, -v53
	v_fmac_f32_e32 v104, v73, v50
	v_fma_f32 v46, v114, v50, -v51
	v_fmac_f32_e32 v26, v74, v54
	;; [unrolled: 2-line block ×4, first 2 shown]
	v_fma_f32 v19, v117, v60, -v32
	v_sub_f32_e32 v50, v40, v118
	v_sub_f32_e32 v51, v102, v80
	;; [unrolled: 1-line block ×4, first 2 shown]
	v_add_f32_e32 v56, v35, v33
	v_add_f32_e32 v60, v43, v42
	v_mul_f32_e32 v17, v110, v59
	v_mul_f32_e32 v31, v64, v59
	v_fmac_f32_e32 v122, v69, v48
	v_fmac_f32_e32 v71, v70, v52
	v_add_f32_e32 v32, v118, v80
	v_add_f32_e32 v52, v40, v102
	v_add_f32_e32 v55, v29, v43
	v_sub_f32_e32 v57, v118, v80
	v_add_f32_e32 v76, v11, v79
	v_add_f32_e32 v50, v50, v51
	v_add_f32_e32 v51, v53, v54
	v_fma_f32 v53, -0.5, v56, v29
	v_fmac_f32_e32 v29, -0.5, v60
	v_fmac_f32_e32 v17, v64, v58
	v_fma_f32 v20, v110, v58, -v31
	v_add_f32_e32 v31, v6, v40
	v_sub_f32_e32 v47, v43, v42
	v_sub_f32_e32 v48, v35, v33
	;; [unrolled: 1-line block ×7, first 2 shown]
	v_add_f32_e32 v62, v4, v66
	v_sub_f32_e32 v63, v66, v119
	v_sub_f32_e32 v64, v122, v82
	;; [unrolled: 1-line block ×5, first 2 shown]
	v_add_f32_e32 v81, v67, v34
	v_add_f32_e32 v107, v120, v104
	v_fma_f32 v32, -0.5, v32, v6
	v_fmac_f32_e32 v6, -0.5, v52
	v_add_f32_e32 v60, v76, v67
	v_fmamk_f32 v67, v57, 0xbf737871, v29
	v_fmac_f32_e32 v29, 0x3f737871, v57
	v_sub_f32_e32 v70, v44, v34
	v_sub_f32_e32 v73, v34, v44
	v_add_f32_e32 v74, v119, v82
	v_sub_f32_e32 v108, v49, v45
	v_add_f32_e32 v35, v55, v35
	v_add_f32_e32 v52, v58, v59
	;; [unrolled: 1-line block ×5, first 2 shown]
	v_fma_f32 v64, -0.5, v107, v5
	v_add_f32_e32 v34, v60, v34
	v_fmamk_f32 v60, v48, 0x3f737871, v6
	v_fmac_f32_e32 v6, 0xbf737871, v48
	v_fmac_f32_e32 v67, 0x3f167918, v40
	;; [unrolled: 1-line block ×3, first 2 shown]
	v_sub_f32_e32 v65, v119, v66
	v_sub_f32_e32 v68, v82, v122
	;; [unrolled: 1-line block ×3, first 2 shown]
	v_add_f32_e32 v79, v79, v44
	v_sub_f32_e32 v109, v103, v46
	v_sub_f32_e32 v110, v121, v120
	v_sub_f32_e32 v111, v71, v104
	v_add_f32_e32 v112, v121, v71
	v_add_f32_e32 v58, v72, v73
	v_fma_f32 v61, -0.5, v74, v4
	v_add_f32_e32 v33, v35, v33
	v_add_f32_e32 v35, v59, v82
	v_fmamk_f32 v59, v47, 0xbf737871, v32
	v_fmac_f32_e32 v32, 0x3f737871, v47
	v_fmamk_f32 v73, v108, 0xbf737871, v64
	v_fmac_f32_e32 v60, 0xbf167918, v47
	v_fmac_f32_e32 v6, 0x3f167918, v47
	v_add_f32_e32 v34, v34, v44
	v_fmac_f32_e32 v67, 0x3e9e377a, v43
	v_fmac_f32_e32 v29, 0x3e9e377a, v43
	;; [unrolled: 1-line block ×3, first 2 shown]
	v_sub_f32_e32 v43, v120, v121
	v_sub_f32_e32 v44, v104, v71
	v_add_f32_e32 v47, v12, v49
	v_add_f32_e32 v78, v66, v122
	v_sub_f32_e32 v66, v66, v122
	v_add_f32_e32 v106, v5, v121
	v_add_f32_e32 v55, v65, v68
	v_fma_f32 v62, -0.5, v81, v11
	v_fmamk_f32 v65, v40, 0x3f737871, v53
	v_fmac_f32_e32 v53, 0xbf737871, v40
	v_fmamk_f32 v68, v75, 0xbf737871, v61
	v_fmac_f32_e32 v61, 0x3f737871, v75
	v_fmac_f32_e32 v59, 0xbf167918, v48
	;; [unrolled: 1-line block ×4, first 2 shown]
	v_add_f32_e32 v40, v110, v111
	v_fmac_f32_e32 v5, -0.5, v112
	v_fmac_f32_e32 v64, 0x3f167918, v109
	v_add_f32_e32 v48, v103, v46
	v_add_f32_e32 v43, v43, v44
	;; [unrolled: 1-line block ×3, first 2 shown]
	v_sub_f32_e32 v105, v119, v82
	v_add_f32_e32 v56, v69, v70
	v_fma_f32 v4, -0.5, v78, v4
	v_fmamk_f32 v70, v66, 0x3f737871, v62
	v_fmac_f32_e32 v62, 0xbf737871, v66
	v_add_f32_e32 v33, v33, v42
	v_fmac_f32_e32 v65, 0x3f167918, v57
	v_fmac_f32_e32 v53, 0xbf167918, v57
	;; [unrolled: 1-line block ×7, first 2 shown]
	v_fmamk_f32 v42, v109, 0x3f737871, v5
	v_fmac_f32_e32 v5, 0xbf737871, v109
	v_fma_f32 v47, -0.5, v48, v12
	v_sub_f32_e32 v48, v121, v71
	v_fmac_f32_e32 v64, 0x3e9e377a, v40
	v_add_f32_e32 v40, v44, v46
	v_add_f32_e32 v50, v49, v45
	v_fmamk_f32 v69, v77, 0x3f737871, v4
	v_fmac_f32_e32 v4, 0xbf737871, v77
	v_fmac_f32_e32 v70, 0x3f167918, v105
	v_fmac_f32_e32 v62, 0xbf167918, v105
	v_fmac_f32_e32 v60, 0x3e9e377a, v51
	v_fmac_f32_e32 v6, 0x3e9e377a, v51
	v_fmac_f32_e32 v65, 0x3e9e377a, v52
	v_fmac_f32_e32 v53, 0x3e9e377a, v52
	v_fmac_f32_e32 v68, 0x3e9e377a, v54
	v_fmac_f32_e32 v61, 0x3e9e377a, v54
	v_fmac_f32_e32 v42, 0xbf167918, v108
	v_fmac_f32_e32 v5, 0x3f167918, v108
	v_fmamk_f32 v44, v48, 0x3f737871, v47
	v_sub_f32_e32 v51, v120, v104
	v_sub_f32_e32 v52, v49, v103
	;; [unrolled: 1-line block ×3, first 2 shown]
	v_fmac_f32_e32 v12, -0.5, v50
	v_add_f32_e32 v40, v40, v45
	v_fmac_f32_e32 v47, 0xbf737871, v48
	v_sub_f32_e32 v49, v103, v49
	v_sub_f32_e32 v45, v46, v45
	v_add_f32_e32 v46, v22, v26
	v_fmac_f32_e32 v69, 0xbf167918, v75
	v_fmac_f32_e32 v4, 0x3f167918, v75
	;; [unrolled: 1-line block ×7, first 2 shown]
	v_add_f32_e32 v43, v52, v54
	v_fmamk_f32 v50, v51, 0xbf737871, v12
	v_fmac_f32_e32 v47, 0xbf167918, v51
	v_add_f32_e32 v45, v49, v45
	v_add_f32_e32 v49, v2, v23
	v_fma_f32 v46, -0.5, v46, v2
	v_sub_f32_e32 v52, v24, v30
	v_fmac_f32_e32 v12, 0x3f737871, v51
	v_add_f32_e32 v56, v23, v28
	v_fmac_f32_e32 v69, 0x3e9e377a, v55
	v_fmac_f32_e32 v4, 0x3e9e377a, v55
	;; [unrolled: 1-line block ×5, first 2 shown]
	v_add_f32_e32 v43, v49, v22
	v_fmamk_f32 v49, v52, 0xbf737871, v46
	v_sub_f32_e32 v51, v25, v27
	v_sub_f32_e32 v54, v23, v22
	v_sub_f32_e32 v55, v28, v26
	v_fmac_f32_e32 v12, 0xbf167918, v48
	v_fma_f32 v2, -0.5, v56, v2
	v_fmac_f32_e32 v46, 0x3f737871, v52
	v_add_f32_e32 v56, v13, v24
	v_fmac_f32_e32 v50, 0x3e9e377a, v45
	v_add_f32_e32 v43, v43, v26
	;; [unrolled: 2-line block ×3, first 2 shown]
	v_fmac_f32_e32 v12, 0x3e9e377a, v45
	v_fmamk_f32 v45, v51, 0x3f737871, v2
	v_sub_f32_e32 v54, v22, v23
	v_sub_f32_e32 v55, v26, v28
	v_fmac_f32_e32 v46, 0x3f167918, v51
	v_add_f32_e32 v57, v25, v27
	v_fmac_f32_e32 v2, 0xbf737871, v51
	v_add_f32_e32 v51, v56, v25
	v_add_f32_e32 v43, v43, v28
	;; [unrolled: 1-line block ×3, first 2 shown]
	v_fma_f32 v55, -0.5, v57, v13
	v_sub_f32_e32 v23, v23, v28
	v_add_f32_e32 v28, v51, v27
	v_add_f32_e32 v51, v24, v30
	v_fmac_f32_e32 v49, 0x3e9e377a, v48
	v_fmac_f32_e32 v45, 0xbf167918, v52
	;; [unrolled: 1-line block ×4, first 2 shown]
	v_fmamk_f32 v48, v23, 0x3f737871, v55
	v_sub_f32_e32 v22, v22, v26
	v_sub_f32_e32 v26, v24, v25
	;; [unrolled: 1-line block ×3, first 2 shown]
	v_fma_f32 v13, -0.5, v51, v13
	v_fmac_f32_e32 v55, 0xbf737871, v23
	v_sub_f32_e32 v24, v25, v24
	v_sub_f32_e32 v25, v27, v30
	v_add_f32_e32 v27, v10, v17
	v_fmac_f32_e32 v45, 0x3e9e377a, v54
	v_fmac_f32_e32 v2, 0x3e9e377a, v54
	;; [unrolled: 1-line block ×3, first 2 shown]
	v_add_f32_e32 v26, v26, v52
	v_fmamk_f32 v52, v22, 0xbf737871, v13
	v_fmac_f32_e32 v55, 0xbf167918, v22
	v_add_f32_e32 v24, v24, v25
	v_fmac_f32_e32 v13, 0x3f737871, v22
	v_fma_f32 v25, -0.5, v27, v3
	v_sub_f32_e32 v27, v16, v19
	v_add_f32_e32 v54, v15, v21
	v_add_f32_e32 v51, v28, v30
	v_fmac_f32_e32 v48, 0x3e9e377a, v26
	v_fmac_f32_e32 v52, 0x3f167918, v23
	v_add_f32_e32 v22, v3, v15
	v_fmac_f32_e32 v55, 0x3e9e377a, v26
	v_fmac_f32_e32 v13, 0xbf167918, v23
	v_fmamk_f32 v23, v27, 0xbf737871, v25
	v_sub_f32_e32 v26, v18, v20
	v_sub_f32_e32 v28, v15, v10
	;; [unrolled: 1-line block ×3, first 2 shown]
	v_fmac_f32_e32 v25, 0x3f737871, v27
	v_fmac_f32_e32 v3, -0.5, v54
	v_fma_f32 v63, -0.5, v79, v11
	v_fmac_f32_e32 v52, 0x3e9e377a, v24
	v_add_f32_e32 v22, v22, v10
	v_fmac_f32_e32 v23, 0xbf167918, v26
	v_add_f32_e32 v28, v28, v30
	v_fmac_f32_e32 v25, 0x3f167918, v26
	v_fmac_f32_e32 v13, 0x3e9e377a, v24
	v_fmamk_f32 v24, v26, 0x3f737871, v3
	v_fmac_f32_e32 v3, 0xbf737871, v26
	v_add_f32_e32 v31, v31, v118
	v_fmamk_f32 v72, v105, 0xbf737871, v63
	v_fmac_f32_e32 v63, 0x3f737871, v105
	v_add_f32_e32 v22, v22, v17
	v_fmac_f32_e32 v23, 0x3e9e377a, v28
	v_fmac_f32_e32 v25, 0x3e9e377a, v28
	v_add_f32_e32 v28, v18, v20
	v_sub_f32_e32 v30, v10, v15
	v_sub_f32_e32 v54, v17, v21
	v_add_f32_e32 v26, v14, v16
	v_fmac_f32_e32 v24, 0xbf167918, v27
	v_fmac_f32_e32 v3, 0x3f167918, v27
	v_add_f32_e32 v27, v16, v19
	v_add_f32_e32 v31, v31, v80
	v_fmac_f32_e32 v72, 0x3f167918, v66
	v_fmac_f32_e32 v63, 0xbf167918, v66
	v_add_f32_e32 v11, v106, v120
	v_add_f32_e32 v22, v22, v21
	v_fma_f32 v56, -0.5, v28, v14
	v_sub_f32_e32 v15, v15, v21
	v_add_f32_e32 v21, v30, v54
	v_add_f32_e32 v26, v26, v18
	v_sub_f32_e32 v10, v10, v17
	v_fmac_f32_e32 v14, -0.5, v27
	v_add_f32_e32 v31, v31, v102
	v_add_f32_e32 v35, v35, v122
	v_fmac_f32_e32 v72, 0x3e9e377a, v58
	v_fmac_f32_e32 v63, 0x3e9e377a, v58
	v_add3_u32 v58, 0, v9, v89
	v_add_f32_e32 v11, v11, v104
	v_fmamk_f32 v30, v15, 0x3f737871, v56
	v_fmac_f32_e32 v24, 0x3e9e377a, v21
	v_fmac_f32_e32 v3, 0x3e9e377a, v21
	v_add_f32_e32 v17, v26, v20
	v_sub_f32_e32 v21, v16, v18
	v_sub_f32_e32 v26, v19, v20
	v_fmac_f32_e32 v56, 0xbf737871, v15
	v_fmamk_f32 v54, v10, 0xbf737871, v14
	v_sub_f32_e32 v16, v18, v16
	v_sub_f32_e32 v18, v20, v19
	v_fmac_f32_e32 v14, 0x3f737871, v10
	ds_write2_b32 v85, v31, v59 offset1:65
	ds_write2_b32 v85, v60, v6 offset0:130 offset1:195
	ds_write2_b32 v87, v32, v35 offset0:4 offset1:69
	;; [unrolled: 1-line block ×3, first 2 shown]
	v_add3_u32 v35, 0, v8, v89
	v_add_nc_u32_e32 v59, 0xc00, v58
	v_add3_u32 v60, 0, v7, v89
	v_add_f32_e32 v11, v11, v71
	v_fmac_f32_e32 v30, 0x3f167918, v10
	v_add_f32_e32 v20, v21, v26
	v_fmac_f32_e32 v56, 0xbf167918, v10
	v_fmac_f32_e32 v54, 0x3f167918, v15
	v_add_f32_e32 v10, v16, v18
	v_fmac_f32_e32 v14, 0xbf167918, v15
	v_add_nc_u32_e32 v32, 0x800, v58
	ds_write2_b32 v88, v4, v61 offset0:8 offset1:73
	v_add_nc_u32_e32 v61, 0xe00, v35
	v_add_nc_u32_e32 v66, 0x1000, v35
	ds_write2_b32 v59, v42, v5 offset0:12 offset1:77
	v_add_nc_u32_e32 v42, 0x1400, v60
	v_add_f32_e32 v57, v17, v19
	v_fmac_f32_e32 v30, 0x3e9e377a, v20
	v_fmac_f32_e32 v56, 0x3e9e377a, v20
	;; [unrolled: 1-line block ×4, first 2 shown]
	ds_write2_b32 v32, v11, v73 offset0:138 offset1:203
	ds_write_b32 v58, v64 offset:3640
	ds_write2_b32 v61, v43, v49 offset0:79 offset1:144
	ds_write2_b32 v66, v45, v2 offset0:81 offset1:146
	ds_write_b32 v35, v46 offset:4940
	ds_write2_b32 v42, v22, v23 offset0:20 offset1:85
	ds_write2_b32 v42, v24, v3 offset0:150 offset1:215
	ds_write_b32 v60, v25 offset:6240
	s_waitcnt lgkmcnt(0)
	s_barrier
	buffer_gl0_inv
	ds_read_b32 v31, v84
	ds_read2_b32 v[10:11], v87 offset0:69 offset1:134
	ds_read2_b32 v[6:7], v88 offset0:73 offset1:138
	;; [unrolled: 1-line block ×12, first 2 shown]
	s_waitcnt lgkmcnt(0)
	s_barrier
	buffer_gl0_inv
	ds_write2_b32 v85, v33, v65 offset1:65
	ds_write2_b32 v85, v67, v29 offset0:130 offset1:195
	ds_write2_b32 v87, v53, v34 offset0:4 offset1:69
	;; [unrolled: 1-line block ×6, first 2 shown]
	ds_write_b32 v58, v47 offset:3640
	ds_write2_b32 v61, v51, v48 offset0:79 offset1:144
	ds_write2_b32 v66, v52, v13 offset0:81 offset1:146
	ds_write_b32 v35, v55 offset:4940
	ds_write2_b32 v42, v57, v30 offset0:20 offset1:85
	ds_write2_b32 v42, v54, v14 offset0:150 offset1:215
	ds_write_b32 v60, v56 offset:6240
	s_waitcnt lgkmcnt(0)
	s_barrier
	buffer_gl0_inv
	s_and_saveexec_b32 s0, vcc_lo
	s_cbranch_execz .LBB0_21
; %bb.20:
	v_lshlrev_b32_e32 v40, 2, v101
	v_add_co_u32 v29, vcc_lo, 0x800, v0
	v_add_co_ci_u32_e32 v30, vcc_lo, 0, v1, vcc_lo
	v_lshlrev_b64 v[12:13], 3, v[40:41]
	v_lshlrev_b32_e32 v40, 2, v99
	v_add_nc_u32_e32 v82, 0x1600, v85
	v_add_nc_u32_e32 v87, 0x600, v85
	;; [unrolled: 1-line block ×4, first 2 shown]
	v_add_co_u32 v14, vcc_lo, s12, v12
	v_add_co_ci_u32_e32 v32, vcc_lo, s13, v13, vcc_lo
	v_lshlrev_b64 v[50:51], 3, v[40:41]
	v_add_co_u32 v12, vcc_lo, 0x800, v14
	v_add_co_ci_u32_e32 v13, vcc_lo, 0, v32, vcc_lo
	v_add_co_u32 v46, vcc_lo, 0x9c0, v14
	v_add_co_ci_u32_e32 v47, vcc_lo, 0, v32, vcc_lo
	v_add_co_u32 v14, vcc_lo, s12, v50
	s_clause 0x2
	global_load_dwordx4 v[32:35], v[29:30], off offset:448
	global_load_dwordx4 v[42:45], v[12:13], off offset:448
	;; [unrolled: 1-line block ×3, first 2 shown]
	v_add_co_ci_u32_e32 v30, vcc_lo, s13, v51, vcc_lo
	v_add_co_u32 v12, vcc_lo, 0x800, v14
	v_lshlrev_b32_e32 v40, 2, v100
	v_add_co_ci_u32_e32 v13, vcc_lo, 0, v30, vcc_lo
	v_add_co_u32 v29, vcc_lo, 0x9c0, v14
	v_add_co_ci_u32_e32 v30, vcc_lo, 0, v30, vcc_lo
	s_clause 0x1
	global_load_dwordx4 v[50:53], v[12:13], off offset:448
	global_load_dwordx4 v[54:57], v[29:30], off offset:16
	v_lshlrev_b64 v[12:13], 3, v[40:41]
	v_lshlrev_b32_e32 v40, 2, v86
	v_add_nc_u32_e32 v86, 0x200, v85
	v_add_nc_u32_e32 v92, 0x1400, v85
	;; [unrolled: 1-line block ×3, first 2 shown]
	v_lshlrev_b64 v[36:37], 3, v[36:37]
	v_add_co_u32 v14, vcc_lo, s12, v12
	v_add_co_ci_u32_e32 v30, vcc_lo, s13, v13, vcc_lo
	v_add_co_u32 v12, vcc_lo, 0x800, v14
	v_add_co_ci_u32_e32 v13, vcc_lo, 0, v30, vcc_lo
	;; [unrolled: 2-line block ×3, first 2 shown]
	s_clause 0x1
	global_load_dwordx4 v[58:61], v[12:13], off offset:448
	global_load_dwordx4 v[62:65], v[29:30], off offset:16
	v_lshlrev_b64 v[12:13], 3, v[40:41]
	v_mul_lo_u32 v40, s2, v39
	v_add_co_u32 v14, vcc_lo, s12, v12
	v_add_co_ci_u32_e32 v30, vcc_lo, s13, v13, vcc_lo
	v_add_co_u32 v12, vcc_lo, 0x800, v14
	v_add_co_ci_u32_e32 v13, vcc_lo, 0, v30, vcc_lo
	;; [unrolled: 2-line block ×3, first 2 shown]
	s_clause 0x1
	global_load_dwordx4 v[66:69], v[12:13], off offset:448
	global_load_dwordx4 v[70:73], v[29:30], off offset:16
	v_add_co_u32 v0, vcc_lo, 0x9c0, v0
	v_add_co_ci_u32_e32 v1, vcc_lo, 0, v1, vcc_lo
	v_add_nc_u32_e32 v13, 0x1200, v85
	v_add_nc_u32_e32 v12, 0x800, v85
	ds_read2_b32 v[29:30], v85 offset0:65 offset1:130
	global_load_dwordx4 v[74:77], v[0:1], off offset:16
	v_add_nc_u32_e32 v0, 0xc00, v85
	ds_read2_b32 v[0:1], v0 offset0:77 offset1:142
	ds_read2_b32 v[78:79], v13 offset0:83 offset1:148
	;; [unrolled: 1-line block ×4, first 2 shown]
	v_add_nc_u32_e32 v82, 0xe00, v85
	ds_read_b32 v98, v84
	ds_read2_b32 v[84:85], v86 offset0:67 offset1:132
	ds_read2_b32 v[86:87], v87 offset0:71 offset1:136
	;; [unrolled: 1-line block ×7, first 2 shown]
	v_mul_lo_u32 v14, s3, v38
	v_mad_u64_u32 v[38:39], null, s2, v38, 0
	v_add3_u32 v39, v39, v40, v14
	s_waitcnt vmcnt(9)
	v_mul_f32_e32 v40, v10, v33
	s_waitcnt vmcnt(8)
	v_mul_f32_e32 v14, v26, v45
	v_mul_f32_e32 v99, v6, v43
	s_waitcnt vmcnt(7)
	v_mul_f32_e32 v100, v8, v47
	v_mul_f32_e32 v101, v28, v49
	s_waitcnt lgkmcnt(11)
	v_mul_f32_e32 v45, v1, v45
	s_waitcnt lgkmcnt(10)
	;; [unrolled: 2-line block ×4, first 2 shown]
	v_mul_f32_e32 v49, v13, v49
	v_fma_f32 v14, v1, v44, -v14
	v_fma_f32 v1, v80, v42, -v99
	v_fma_f32 v78, v78, v46, -v100
	v_fma_f32 v80, v13, v48, -v101
	v_fmac_f32_e32 v45, v26, v44
	v_fmac_f32_e32 v47, v8, v46
	v_fmac_f32_e32 v43, v6, v42
	v_fmac_f32_e32 v49, v28, v48
	s_waitcnt vmcnt(6)
	v_mul_f32_e32 v6, v24, v51
	v_mul_f32_e32 v8, v25, v53
	s_waitcnt vmcnt(5)
	v_mul_f32_e32 v13, v27, v57
	v_mul_f32_e32 v26, v22, v55
	s_waitcnt lgkmcnt(5)
	v_mul_f32_e32 v28, v87, v51
	v_mul_f32_e32 v46, v12, v57
	v_mul_f32_e32 v42, v0, v53
	s_waitcnt lgkmcnt(4)
	v_mul_f32_e32 v44, v89, v55
	v_sub_f32_e32 v48, v14, v1
	v_sub_f32_e32 v51, v78, v80
	v_add_f32_e32 v55, v1, v80
	v_sub_f32_e32 v57, v43, v49
	v_sub_f32_e32 v99, v1, v14
	v_sub_f32_e32 v100, v80, v78
	v_add_f32_e32 v101, v14, v78
	v_add_f32_e32 v102, v1, v85
	v_sub_f32_e32 v103, v45, v43
	v_sub_f32_e32 v104, v47, v49
	v_add_f32_e32 v106, v43, v49
	v_sub_f32_e32 v108, v43, v45
	v_sub_f32_e32 v109, v49, v47
	v_add_f32_e32 v110, v45, v47
	v_add_f32_e32 v43, v20, v43
	v_fma_f32 v6, v87, v50, -v6
	v_fma_f32 v8, v0, v52, -v8
	;; [unrolled: 1-line block ×4, first 2 shown]
	v_fmac_f32_e32 v28, v24, v50
	v_fmac_f32_e32 v46, v27, v56
	;; [unrolled: 1-line block ×4, first 2 shown]
	s_waitcnt vmcnt(4)
	v_mul_f32_e32 v22, v23, v59
	v_mul_f32_e32 v24, v18, v61
	s_waitcnt vmcnt(3)
	v_mul_f32_e32 v25, v16, v65
	v_mul_f32_e32 v26, v21, v63
	;; [unrolled: 1-line block ×3, first 2 shown]
	s_waitcnt lgkmcnt(2)
	v_mul_f32_e32 v52, v93, v65
	v_mul_f32_e32 v54, v91, v61
	;; [unrolled: 1-line block ×3, first 2 shown]
	v_sub_f32_e32 v53, v45, v47
	v_sub_f32_e32 v105, v1, v80
	;; [unrolled: 1-line block ×3, first 2 shown]
	v_add_f32_e32 v48, v48, v51
	v_fma_f32 v1, -0.5, v55, v85
	v_add_f32_e32 v51, v99, v100
	v_fma_f32 v13, -0.5, v101, v85
	v_add_f32_e32 v14, v14, v102
	v_add_f32_e32 v55, v103, v104
	v_fma_f32 v0, -0.5, v106, v20
	v_add_f32_e32 v59, v108, v109
	v_fma_f32 v12, -0.5, v110, v20
	v_add_f32_e32 v27, v45, v43
	v_sub_f32_e32 v43, v6, v8
	v_sub_f32_e32 v45, v87, v89
	v_add_f32_e32 v61, v8, v89
	v_sub_f32_e32 v63, v28, v46
	v_sub_f32_e32 v85, v28, v42
	v_sub_f32_e32 v99, v46, v44
	v_add_f32_e32 v100, v42, v44
	v_sub_f32_e32 v101, v6, v87
	;; [unrolled: 4-line block ×3, first 2 shown]
	v_sub_f32_e32 v109, v44, v46
	v_fma_f32 v86, v86, v58, -v22
	v_add_f32_e32 v110, v28, v46
	v_add_f32_e32 v6, v6, v84
	;; [unrolled: 1-line block ×3, first 2 shown]
	v_fma_f32 v91, v91, v60, -v24
	v_fma_f32 v93, v93, v64, -v25
	v_fma_f32 v88, v88, v62, -v26
	v_fmac_f32_e32 v50, v23, v58
	v_fmac_f32_e32 v52, v16, v64
	;; [unrolled: 1-line block ×4, first 2 shown]
	s_waitcnt vmcnt(2)
	v_mul_f32_e32 v16, v11, v67
	v_mul_f32_e32 v18, v17, v69
	s_waitcnt vmcnt(1)
	v_mul_f32_e32 v58, v15, v73
	v_mul_f32_e32 v60, v5, v71
	s_waitcnt lgkmcnt(1)
	v_mul_f32_e32 v67, v95, v67
	v_sub_f32_e32 v65, v42, v44
	v_sub_f32_e32 v102, v8, v89
	v_mul_f32_e32 v62, v90, v69
	s_waitcnt lgkmcnt(0)
	v_mul_f32_e32 v64, v97, v71
	v_mul_f32_e32 v69, v92, v73
	v_fmamk_f32 v23, v53, 0x3f737871, v1
	v_fmac_f32_e32 v1, 0xbf737871, v53
	v_fmamk_f32 v21, v57, 0xbf737871, v13
	v_fmac_f32_e32 v13, 0x3f737871, v57
	v_add_f32_e32 v14, v78, v14
	v_add_f32_e32 v47, v27, v47
	;; [unrolled: 1-line block ×3, first 2 shown]
	v_fma_f32 v27, -0.5, v61, v84
	v_add_f32_e32 v61, v85, v99
	v_fma_f32 v26, -0.5, v100, v19
	v_add_f32_e32 v73, v103, v104
	;; [unrolled: 2-line block ×4, first 2 shown]
	v_add_f32_e32 v19, v28, v42
	v_sub_f32_e32 v28, v86, v91
	v_sub_f32_e32 v42, v93, v88
	v_sub_f32_e32 v84, v50, v52
	v_sub_f32_e32 v45, v50, v54
	v_sub_f32_e32 v99, v52, v56
	v_add_f32_e32 v100, v54, v56
	v_sub_f32_e32 v103, v86, v93
	v_sub_f32_e32 v106, v91, v86
	v_add_f32_e32 v109, v86, v93
	v_sub_f32_e32 v110, v54, v50
	v_fma_f32 v90, v90, v68, -v18
	v_add_f32_e32 v18, v50, v52
	v_add_f32_e32 v86, v86, v30
	;; [unrolled: 1-line block ×3, first 2 shown]
	v_fma_f32 v95, v95, v66, -v16
	v_fma_f32 v58, v92, v72, -v58
	;; [unrolled: 1-line block ×3, first 2 shown]
	v_fmac_f32_e32 v67, v11, v66
	v_fmamk_f32 v22, v107, 0xbf737871, v0
	v_fmac_f32_e32 v0, 0x3f737871, v107
	v_add_f32_e32 v43, v91, v88
	v_sub_f32_e32 v104, v91, v88
	v_fmac_f32_e32 v62, v17, v68
	v_fmac_f32_e32 v64, v5, v70
	;; [unrolled: 1-line block ×7, first 2 shown]
	v_add_f32_e32 v8, v89, v8
	v_add_f32_e32 v11, v19, v44
	;; [unrolled: 1-line block ×4, first 2 shown]
	v_fma_f32 v42, -0.5, v100, v3
	v_fma_f32 v44, -0.5, v18, v3
	v_add_f32_e32 v3, v91, v86
	v_add_f32_e32 v50, v50, v54
	v_sub_f32_e32 v53, v95, v90
	v_add_f32_e32 v57, v90, v60
	v_sub_f32_e32 v91, v95, v58
	v_add_f32_e32 v97, v95, v29
	v_add_f32_e32 v99, v2, v67
	v_sub_f32_e32 v100, v90, v95
	v_add_f32_e32 v95, v95, v58
	v_fmamk_f32 v20, v105, 0x3f737871, v12
	v_fmac_f32_e32 v12, 0xbf737871, v105
	v_sub_f32_e32 v85, v54, v56
	v_sub_f32_e32 v111, v56, v52
	v_fmac_f32_e32 v22, 0x3f167918, v105
	v_fmac_f32_e32 v0, 0xbf167918, v105
	v_fma_f32 v43, -0.5, v43, v30
	v_sub_f32_e32 v54, v58, v60
	v_sub_f32_e32 v70, v62, v64
	;; [unrolled: 1-line block ×3, first 2 shown]
	v_fmac_f32_e32 v21, 0x3e9e377a, v51
	v_fmac_f32_e32 v13, 0x3e9e377a, v51
	v_add_f32_e32 v19, v87, v8
	v_add_f32_e32 v3, v88, v3
	;; [unrolled: 1-line block ×3, first 2 shown]
	v_fma_f32 v51, -0.5, v57, v29
	v_add_f32_e32 v56, v90, v97
	v_add_f32_e32 v57, v99, v62
	v_fmac_f32_e32 v29, -0.5, v95
	v_sub_f32_e32 v108, v88, v93
	v_add_f32_e32 v6, v80, v14
	v_fmac_f32_e32 v20, 0x3f167918, v107
	v_fmac_f32_e32 v12, 0xbf167918, v107
	v_add_f32_e32 v5, v47, v49
	v_fmamk_f32 v14, v101, 0x3f737871, v26
	v_fmac_f32_e32 v26, 0xbf737871, v101
	v_sub_f32_e32 v105, v60, v58
	v_fmac_f32_e32 v23, 0x3e9e377a, v48
	v_fmac_f32_e32 v1, 0x3e9e377a, v48
	;; [unrolled: 1-line block ×4, first 2 shown]
	v_add_f32_e32 v18, v46, v11
	v_fmamk_f32 v47, v84, 0xbf737871, v43
	v_fmamk_f32 v48, v104, 0xbf737871, v44
	v_fmac_f32_e32 v43, 0x3f737871, v84
	v_fmac_f32_e32 v44, 0x3f737871, v104
	v_add_f32_e32 v11, v53, v54
	v_add_f32_e32 v53, v93, v3
	;; [unrolled: 1-line block ×3, first 2 shown]
	v_fmamk_f32 v55, v72, 0x3f737871, v51
	v_add_f32_e32 v3, v60, v56
	v_add_f32_e32 v8, v57, v64
	v_fmamk_f32 v57, v70, 0x3f737871, v29
	v_fmac_f32_e32 v29, 0xbf737871, v70
	v_fmac_f32_e32 v51, 0xbf737871, v72
	v_add_f32_e32 v89, v62, v64
	v_mul_f32_e32 v82, v7, v35
	v_add_f32_e32 v68, v106, v108
	v_fma_f32 v45, -0.5, v109, v30
	v_add_f32_e32 v30, v110, v111
	v_sub_f32_e32 v80, v67, v62
	v_sub_f32_e32 v106, v62, v67
	v_add_f32_e32 v67, v67, v69
	v_fmac_f32_e32 v20, 0x3e9e377a, v59
	v_fmac_f32_e32 v12, 0x3e9e377a, v59
	;; [unrolled: 1-line block ×4, first 2 shown]
	v_add_f32_e32 v62, v100, v105
	v_fmac_f32_e32 v47, 0xbf167918, v85
	v_fmac_f32_e32 v48, 0x3f167918, v103
	;; [unrolled: 1-line block ×5, first 2 shown]
	v_add_f32_e32 v59, v58, v3
	v_add_f32_e32 v58, v69, v8
	v_fmac_f32_e32 v57, 0xbf167918, v72
	v_fmac_f32_e32 v29, 0x3f167918, v72
	;; [unrolled: 1-line block ×3, first 2 shown]
	s_waitcnt vmcnt(0)
	v_mul_f32_e32 v3, v4, v75
	v_mul_f32_e32 v8, v9, v77
	v_fma_f32 v50, -0.5, v89, v2
	v_sub_f32_e32 v92, v90, v60
	v_fmac_f32_e32 v2, -0.5, v67
	v_fmac_f32_e32 v14, 0x3e9e377a, v61
	v_fmac_f32_e32 v26, 0x3e9e377a, v61
	v_fmac_f32_e32 v47, 0x3e9e377a, v28
	v_fmac_f32_e32 v48, 0x3e9e377a, v30
	v_fmac_f32_e32 v43, 0x3e9e377a, v28
	v_fmac_f32_e32 v44, 0x3e9e377a, v30
	v_fmac_f32_e32 v55, 0x3e9e377a, v11
	v_fmac_f32_e32 v57, 0x3e9e377a, v62
	v_fmac_f32_e32 v29, 0x3e9e377a, v62
	v_fmac_f32_e32 v51, 0x3e9e377a, v11
	v_fma_f32 v11, v94, v32, -v40
	v_fma_f32 v28, v81, v34, -v82
	;; [unrolled: 1-line block ×3, first 2 shown]
	v_mul_f32_e32 v40, v94, v33
	v_fma_f32 v60, v79, v76, -v8
	v_mul_f32_e32 v61, v79, v77
	v_mul_f32_e32 v35, v81, v35
	v_mul_f32_e32 v62, v96, v75
	v_fmamk_f32 v17, v65, 0x3f737871, v25
	v_fmac_f32_e32 v25, 0xbf737871, v65
	v_sub_f32_e32 v86, v69, v64
	v_fmamk_f32 v54, v91, 0xbf737871, v50
	v_fmac_f32_e32 v50, 0x3f737871, v91
	v_fmamk_f32 v15, v63, 0xbf737871, v27
	v_fmac_f32_e32 v27, 0x3f737871, v63
	v_sub_f32_e32 v107, v64, v69
	v_fmamk_f32 v46, v103, 0x3f737871, v42
	v_fmac_f32_e32 v42, 0xbf737871, v103
	v_fmamk_f32 v56, v92, 0xbf737871, v2
	v_fmac_f32_e32 v2, 0x3f737871, v92
	v_sub_f32_e32 v3, v11, v28
	v_fmac_f32_e32 v40, v10, v32
	v_fmac_f32_e32 v61, v9, v76
	v_sub_f32_e32 v9, v60, v30
	v_fmac_f32_e32 v35, v7, v34
	v_fmac_f32_e32 v62, v4, v74
	;; [unrolled: 1-line block ×4, first 2 shown]
	v_add_f32_e32 v63, v80, v86
	v_fmac_f32_e32 v54, 0xbf167918, v92
	v_fmac_f32_e32 v50, 0x3f167918, v92
	;; [unrolled: 1-line block ×4, first 2 shown]
	v_fmamk_f32 v49, v85, 0x3f737871, v45
	v_fmac_f32_e32 v45, 0xbf737871, v85
	v_add_f32_e32 v65, v106, v107
	v_fmac_f32_e32 v46, 0x3f167918, v104
	v_fmac_f32_e32 v42, 0xbf167918, v104
	;; [unrolled: 1-line block ×4, first 2 shown]
	v_add_f32_e32 v64, v3, v9
	v_sub_f32_e32 v9, v40, v35
	v_sub_f32_e32 v10, v61, v62
	v_add_f32_e32 v32, v11, v60
	v_fmac_f32_e32 v54, 0x3e9e377a, v63
	v_fmac_f32_e32 v50, 0x3e9e377a, v63
	v_mul_hi_u32 v63, 0xc9a633fd, v83
	v_fmac_f32_e32 v49, 0xbf167918, v84
	v_fmac_f32_e32 v45, 0x3f167918, v84
	;; [unrolled: 1-line block ×5, first 2 shown]
	v_add_f32_e32 v8, v28, v30
	v_fmac_f32_e32 v2, 0x3e9e377a, v65
	v_add_f32_e32 v3, v35, v62
	v_sub_f32_e32 v65, v35, v62
	v_sub_f32_e32 v66, v11, v60
	v_add_f32_e32 v67, v9, v10
	v_add_f32_e32 v9, v40, v61
	v_fma_f32 v10, -0.5, v32, v98
	v_sub_f32_e32 v69, v28, v11
	v_add_f32_e32 v11, v11, v98
	v_fmac_f32_e32 v49, 0x3e9e377a, v68
	v_fmac_f32_e32 v45, 0x3e9e377a, v68
	v_fma_f32 v8, -0.5, v8, v98
	v_sub_f32_e32 v34, v40, v61
	v_fma_f32 v7, -0.5, v3, v31
	v_sub_f32_e32 v68, v28, v30
	v_fma_f32 v9, -0.5, v9, v31
	v_fmamk_f32 v33, v65, 0x3f737871, v10
	v_fmac_f32_e32 v10, 0xbf737871, v65
	v_add_f32_e32 v11, v28, v11
	v_add_f32_e32 v28, v31, v40
	v_lshrrev_b32_e32 v31, 8, v63
	v_fmamk_f32 v4, v34, 0xbf737871, v8
	v_sub_f32_e32 v70, v30, v60
	v_fmac_f32_e32 v33, 0xbf167918, v34
	v_fmac_f32_e32 v8, 0x3f737871, v34
	;; [unrolled: 1-line block ×3, first 2 shown]
	v_add_f32_e32 v11, v30, v11
	v_mul_u32_u24_e32 v34, 0x145, v31
	v_lshlrev_b64 v[30:31], 3, v[38:39]
	v_add_f32_e32 v28, v28, v35
	v_add_nc_u32_e32 v38, 0x41, v83
	v_fmac_f32_e32 v15, 0x3e9e377a, v71
	v_fmac_f32_e32 v27, 0x3e9e377a, v71
	v_sub_f32_e32 v71, v35, v40
	v_add_f32_e32 v35, v60, v11
	v_add_f32_e32 v11, v28, v62
	v_sub_nc_u32_e32 v28, v83, v34
	v_add_co_u32 v30, vcc_lo, s10, v30
	v_mul_hi_u32 v40, 0xc9a633fd, v38
	v_add_co_ci_u32_e32 v31, vcc_lo, s11, v31, vcc_lo
	v_lshlrev_b32_e32 v28, 3, v28
	v_add_co_u32 v39, vcc_lo, v30, v36
	v_fmamk_f32 v3, v66, 0x3f737871, v7
	v_fmac_f32_e32 v7, 0xbf737871, v66
	v_add_co_ci_u32_e32 v60, vcc_lo, v31, v37, vcc_lo
	v_add_f32_e32 v34, v61, v11
	v_lshrrev_b32_e32 v11, 8, v40
	v_add_co_u32 v30, vcc_lo, v39, v28
	v_fmac_f32_e32 v8, 0x3f167918, v65
	v_fmac_f32_e32 v7, 0xbf167918, v68
	v_add_co_ci_u32_e32 v31, vcc_lo, 0, v60, vcc_lo
	v_mul_u32_u24_e32 v28, 0x145, v11
	v_sub_f32_e32 v72, v62, v61
	v_fmamk_f32 v32, v68, 0xbf737871, v9
	v_fmac_f32_e32 v9, 0x3f737871, v68
	v_add_co_u32 v36, vcc_lo, 0x800, v30
	v_fmac_f32_e32 v8, 0x3e9e377a, v64
	v_fmac_f32_e32 v7, 0x3e9e377a, v67
	v_add_co_ci_u32_e32 v37, vcc_lo, 0, v31, vcc_lo
	v_sub_nc_u32_e32 v28, v38, v28
	v_add_f32_e32 v69, v69, v70
	v_add_f32_e32 v70, v71, v72
	v_fmac_f32_e32 v9, 0xbf167918, v66
	global_store_dwordx2 v[30:31], v[34:35], off
	global_store_dwordx2 v[36:37], v[7:8], off offset:552
	v_add_co_u32 v7, vcc_lo, 0x1000, v30
	v_fmac_f32_e32 v32, 0x3f167918, v66
	v_add_co_ci_u32_e32 v8, vcc_lo, 0, v31, vcc_lo
	v_mad_u32_u24 v40, 0x659, v11, v28
	v_fmac_f32_e32 v4, 0xbf167918, v65
	v_fmac_f32_e32 v3, 0x3f167918, v68
	v_add_co_u32 v34, vcc_lo, 0x1800, v30
	v_fmac_f32_e32 v10, 0x3e9e377a, v69
	v_fmac_f32_e32 v9, 0x3e9e377a, v70
	v_add_co_ci_u32_e32 v35, vcc_lo, 0, v31, vcc_lo
	v_add_co_u32 v30, vcc_lo, 0x2800, v30
	v_fmac_f32_e32 v33, 0x3e9e377a, v69
	v_fmac_f32_e32 v32, 0x3e9e377a, v70
	v_add_nc_u32_e32 v36, 0x145, v40
	v_mov_b32_e32 v37, v41
	v_add_nc_u32_e32 v11, 0x82, v83
	v_fmac_f32_e32 v4, 0x3e9e377a, v64
	v_fmac_f32_e32 v3, 0x3e9e377a, v67
	v_add_co_ci_u32_e32 v31, vcc_lo, 0, v31, vcc_lo
	global_store_dwordx2 v[7:8], v[9:10], off offset:1104
	v_lshlrev_b64 v[7:8], 3, v[40:41]
	global_store_dwordx2 v[34:35], v[32:33], off offset:1656
	global_store_dwordx2 v[30:31], v[3:4], off offset:160
	v_lshlrev_b64 v[3:4], 3, v[36:37]
	v_mul_hi_u32 v28, 0xc9a633fd, v11
	v_add_nc_u32_e32 v9, 0x28a, v40
	v_mov_b32_e32 v10, v41
	v_add_co_u32 v7, vcc_lo, v39, v7
	v_add_co_ci_u32_e32 v8, vcc_lo, v60, v8, vcc_lo
	v_add_co_u32 v3, vcc_lo, v39, v3
	v_add_co_ci_u32_e32 v4, vcc_lo, v60, v4, vcc_lo
	v_lshrrev_b32_e32 v32, 8, v28
	global_store_dwordx2 v[7:8], v[58:59], off
	v_lshlrev_b64 v[7:8], 3, v[9:10]
	global_store_dwordx2 v[3:4], v[54:55], off
	v_add_nc_u32_e32 v30, 0x3cf, v40
	v_mul_u32_u24_e32 v4, 0x145, v32
	v_add_nc_u32_e32 v40, 0x514, v40
	v_mov_b32_e32 v31, v41
	v_add_co_u32 v7, vcc_lo, v39, v7
	v_sub_nc_u32_e32 v4, v11, v4
	v_mov_b32_e32 v3, v29
	v_lshlrev_b64 v[28:29], 3, v[40:41]
	v_lshlrev_b64 v[9:10], 3, v[30:31]
	v_add_co_ci_u32_e32 v8, vcc_lo, v60, v8, vcc_lo
	v_mad_u32_u24 v40, 0x659, v32, v4
	v_add_nc_u32_e32 v4, 0xc3, v83
	v_fmamk_f32 v16, v102, 0xbf737871, v24
	v_add_co_u32 v9, vcc_lo, v39, v9
	v_add_nc_u32_e32 v30, 0x145, v40
	global_store_dwordx2 v[7:8], v[2:3], off
	v_lshlrev_b64 v[2:3], 3, v[40:41]
	v_add_co_ci_u32_e32 v10, vcc_lo, v60, v10, vcc_lo
	v_add_co_u32 v28, vcc_lo, v39, v28
	v_lshlrev_b64 v[7:8], 3, v[30:31]
	v_mul_hi_u32 v11, 0xc9a633fd, v4
	v_add_co_ci_u32_e32 v29, vcc_lo, v60, v29, vcc_lo
	v_add_co_u32 v2, vcc_lo, v39, v2
	v_add_co_ci_u32_e32 v3, vcc_lo, v60, v3, vcc_lo
	v_add_co_u32 v7, vcc_lo, v39, v7
	global_store_dwordx2 v[9:10], v[56:57], off
	global_store_dwordx2 v[28:29], v[50:51], off
	v_add_co_ci_u32_e32 v8, vcc_lo, v60, v8, vcc_lo
	v_add_nc_u32_e32 v28, 0x3cf, v40
	v_mov_b32_e32 v29, v41
	v_lshrrev_b32_e32 v11, 8, v11
	v_add_nc_u32_e32 v9, 0x28a, v40
	v_mov_b32_e32 v10, v41
	global_store_dwordx2 v[7:8], v[42:43], off
	v_lshlrev_b64 v[7:8], 3, v[28:29]
	v_mul_u32_u24_e32 v28, 0x145, v11
	global_store_dwordx2 v[2:3], v[52:53], off
	v_lshlrev_b64 v[2:3], 3, v[9:10]
	v_add_nc_u32_e32 v40, 0x514, v40
	v_fmac_f32_e32 v24, 0x3f737871, v102
	v_sub_nc_u32_e32 v4, v4, v28
	v_fmac_f32_e32 v16, 0x3f167918, v101
	v_fmac_f32_e32 v25, 0x3e9e377a, v73
	v_add_co_u32 v2, vcc_lo, v39, v2
	v_lshlrev_b64 v[9:10], 3, v[40:41]
	v_add_co_ci_u32_e32 v3, vcc_lo, v60, v3, vcc_lo
	v_mad_u32_u24 v40, 0x659, v11, v4
	v_add_co_u32 v7, vcc_lo, v39, v7
	v_add_co_ci_u32_e32 v8, vcc_lo, v60, v8, vcc_lo
	v_add_nc_u32_e32 v4, 0x104, v83
	v_add_co_u32 v9, vcc_lo, v39, v9
	v_add_nc_u32_e32 v28, 0x145, v40
	v_add_co_ci_u32_e32 v10, vcc_lo, v60, v10, vcc_lo
	global_store_dwordx2 v[2:3], v[44:45], off
	v_lshlrev_b64 v[2:3], 3, v[40:41]
	v_mul_hi_u32 v11, 0xc9a633fd, v4
	global_store_dwordx2 v[7:8], v[48:49], off
	global_store_dwordx2 v[9:10], v[46:47], off
	v_lshlrev_b64 v[7:8], 3, v[28:29]
	v_add_nc_u32_e32 v9, 0x28a, v40
	v_mov_b32_e32 v10, v41
	v_add_co_u32 v2, vcc_lo, v39, v2
	v_add_co_ci_u32_e32 v3, vcc_lo, v60, v3, vcc_lo
	v_add_co_u32 v7, vcc_lo, v39, v7
	v_lshrrev_b32_e32 v11, 8, v11
	v_add_co_ci_u32_e32 v8, vcc_lo, v60, v8, vcc_lo
	v_add_nc_u32_e32 v28, 0x3cf, v40
	global_store_dwordx2 v[2:3], v[18:19], off
	v_lshlrev_b64 v[2:3], 3, v[9:10]
	v_add_nc_u32_e32 v40, 0x514, v40
	v_mul_u32_u24_e32 v18, 0x145, v11
	global_store_dwordx2 v[7:8], v[26:27], off
	v_lshlrev_b64 v[7:8], 3, v[28:29]
	v_fmac_f32_e32 v24, 0xbf167918, v101
	v_add_co_u32 v2, vcc_lo, v39, v2
	v_lshlrev_b64 v[9:10], 3, v[40:41]
	v_sub_nc_u32_e32 v4, v4, v18
	v_add_co_ci_u32_e32 v3, vcc_lo, v60, v3, vcc_lo
	v_add_co_u32 v7, vcc_lo, v39, v7
	v_add_co_ci_u32_e32 v8, vcc_lo, v60, v8, vcc_lo
	v_mad_u32_u24 v40, 0x659, v11, v4
	v_add_co_u32 v9, vcc_lo, v39, v9
	v_fmac_f32_e32 v24, 0x3e9e377a, v78
	v_fmac_f32_e32 v17, 0x3e9e377a, v73
	;; [unrolled: 1-line block ×3, first 2 shown]
	v_add_co_ci_u32_e32 v10, vcc_lo, v60, v10, vcc_lo
	v_add_nc_u32_e32 v18, 0x145, v40
	v_mov_b32_e32 v19, v41
	global_store_dwordx2 v[2:3], v[24:25], off
	global_store_dwordx2 v[7:8], v[16:17], off
	v_lshlrev_b64 v[2:3], 3, v[40:41]
	global_store_dwordx2 v[9:10], v[14:15], off
	v_add_nc_u32_e32 v9, 0x28a, v40
	v_mov_b32_e32 v10, v41
	v_lshlrev_b64 v[7:8], 3, v[18:19]
	v_add_nc_u32_e32 v14, 0x3cf, v40
	v_mov_b32_e32 v15, v41
	v_add_co_u32 v2, vcc_lo, v39, v2
	v_lshlrev_b64 v[9:10], 3, v[9:10]
	v_add_nc_u32_e32 v40, 0x514, v40
	v_add_co_ci_u32_e32 v3, vcc_lo, v60, v3, vcc_lo
	v_add_co_u32 v7, vcc_lo, v39, v7
	v_lshlrev_b64 v[14:15], 3, v[14:15]
	v_add_co_ci_u32_e32 v8, vcc_lo, v60, v8, vcc_lo
	v_add_co_u32 v9, vcc_lo, v39, v9
	v_lshlrev_b64 v[16:17], 3, v[40:41]
	v_add_co_ci_u32_e32 v10, vcc_lo, v60, v10, vcc_lo
	v_add_co_u32 v14, vcc_lo, v39, v14
	v_add_co_ci_u32_e32 v15, vcc_lo, v60, v15, vcc_lo
	v_add_co_u32 v16, vcc_lo, v39, v16
	v_add_co_ci_u32_e32 v17, vcc_lo, v60, v17, vcc_lo
	global_store_dwordx2 v[2:3], v[5:6], off
	global_store_dwordx2 v[7:8], v[12:13], off
	;; [unrolled: 1-line block ×5, first 2 shown]
.LBB0_21:
	s_endpgm
	.section	.rodata,"a",@progbits
	.p2align	6, 0x0
	.amdhsa_kernel fft_rtc_back_len1625_factors_13_5_5_5_wgs_130_tpt_65_halfLds_sp_op_CI_CI_unitstride_sbrr_dirReg
		.amdhsa_group_segment_fixed_size 0
		.amdhsa_private_segment_fixed_size 0
		.amdhsa_kernarg_size 104
		.amdhsa_user_sgpr_count 6
		.amdhsa_user_sgpr_private_segment_buffer 1
		.amdhsa_user_sgpr_dispatch_ptr 0
		.amdhsa_user_sgpr_queue_ptr 0
		.amdhsa_user_sgpr_kernarg_segment_ptr 1
		.amdhsa_user_sgpr_dispatch_id 0
		.amdhsa_user_sgpr_flat_scratch_init 0
		.amdhsa_user_sgpr_private_segment_size 0
		.amdhsa_wavefront_size32 1
		.amdhsa_uses_dynamic_stack 0
		.amdhsa_system_sgpr_private_segment_wavefront_offset 0
		.amdhsa_system_sgpr_workgroup_id_x 1
		.amdhsa_system_sgpr_workgroup_id_y 0
		.amdhsa_system_sgpr_workgroup_id_z 0
		.amdhsa_system_sgpr_workgroup_info 0
		.amdhsa_system_vgpr_workitem_id 0
		.amdhsa_next_free_vgpr 130
		.amdhsa_next_free_sgpr 27
		.amdhsa_reserve_vcc 1
		.amdhsa_reserve_flat_scratch 0
		.amdhsa_float_round_mode_32 0
		.amdhsa_float_round_mode_16_64 0
		.amdhsa_float_denorm_mode_32 3
		.amdhsa_float_denorm_mode_16_64 3
		.amdhsa_dx10_clamp 1
		.amdhsa_ieee_mode 1
		.amdhsa_fp16_overflow 0
		.amdhsa_workgroup_processor_mode 1
		.amdhsa_memory_ordered 1
		.amdhsa_forward_progress 0
		.amdhsa_shared_vgpr_count 0
		.amdhsa_exception_fp_ieee_invalid_op 0
		.amdhsa_exception_fp_denorm_src 0
		.amdhsa_exception_fp_ieee_div_zero 0
		.amdhsa_exception_fp_ieee_overflow 0
		.amdhsa_exception_fp_ieee_underflow 0
		.amdhsa_exception_fp_ieee_inexact 0
		.amdhsa_exception_int_div_zero 0
	.end_amdhsa_kernel
	.text
.Lfunc_end0:
	.size	fft_rtc_back_len1625_factors_13_5_5_5_wgs_130_tpt_65_halfLds_sp_op_CI_CI_unitstride_sbrr_dirReg, .Lfunc_end0-fft_rtc_back_len1625_factors_13_5_5_5_wgs_130_tpt_65_halfLds_sp_op_CI_CI_unitstride_sbrr_dirReg
                                        ; -- End function
	.section	.AMDGPU.csdata,"",@progbits
; Kernel info:
; codeLenInByte = 17648
; NumSgprs: 29
; NumVgprs: 130
; ScratchSize: 0
; MemoryBound: 0
; FloatMode: 240
; IeeeMode: 1
; LDSByteSize: 0 bytes/workgroup (compile time only)
; SGPRBlocks: 3
; VGPRBlocks: 16
; NumSGPRsForWavesPerEU: 29
; NumVGPRsForWavesPerEU: 130
; Occupancy: 7
; WaveLimiterHint : 1
; COMPUTE_PGM_RSRC2:SCRATCH_EN: 0
; COMPUTE_PGM_RSRC2:USER_SGPR: 6
; COMPUTE_PGM_RSRC2:TRAP_HANDLER: 0
; COMPUTE_PGM_RSRC2:TGID_X_EN: 1
; COMPUTE_PGM_RSRC2:TGID_Y_EN: 0
; COMPUTE_PGM_RSRC2:TGID_Z_EN: 0
; COMPUTE_PGM_RSRC2:TIDIG_COMP_CNT: 0
	.text
	.p2alignl 6, 3214868480
	.fill 48, 4, 3214868480
	.type	__hip_cuid_10ce7e82c959675a,@object ; @__hip_cuid_10ce7e82c959675a
	.section	.bss,"aw",@nobits
	.globl	__hip_cuid_10ce7e82c959675a
__hip_cuid_10ce7e82c959675a:
	.byte	0                               ; 0x0
	.size	__hip_cuid_10ce7e82c959675a, 1

	.ident	"AMD clang version 19.0.0git (https://github.com/RadeonOpenCompute/llvm-project roc-6.4.0 25133 c7fe45cf4b819c5991fe208aaa96edf142730f1d)"
	.section	".note.GNU-stack","",@progbits
	.addrsig
	.addrsig_sym __hip_cuid_10ce7e82c959675a
	.amdgpu_metadata
---
amdhsa.kernels:
  - .args:
      - .actual_access:  read_only
        .address_space:  global
        .offset:         0
        .size:           8
        .value_kind:     global_buffer
      - .offset:         8
        .size:           8
        .value_kind:     by_value
      - .actual_access:  read_only
        .address_space:  global
        .offset:         16
        .size:           8
        .value_kind:     global_buffer
      - .actual_access:  read_only
        .address_space:  global
        .offset:         24
        .size:           8
        .value_kind:     global_buffer
      - .actual_access:  read_only
        .address_space:  global
        .offset:         32
        .size:           8
        .value_kind:     global_buffer
      - .offset:         40
        .size:           8
        .value_kind:     by_value
      - .actual_access:  read_only
        .address_space:  global
        .offset:         48
        .size:           8
        .value_kind:     global_buffer
      - .actual_access:  read_only
        .address_space:  global
        .offset:         56
        .size:           8
        .value_kind:     global_buffer
      - .offset:         64
        .size:           4
        .value_kind:     by_value
      - .actual_access:  read_only
        .address_space:  global
        .offset:         72
        .size:           8
        .value_kind:     global_buffer
      - .actual_access:  read_only
        .address_space:  global
        .offset:         80
        .size:           8
        .value_kind:     global_buffer
      - .actual_access:  read_only
        .address_space:  global
        .offset:         88
        .size:           8
        .value_kind:     global_buffer
      - .actual_access:  write_only
        .address_space:  global
        .offset:         96
        .size:           8
        .value_kind:     global_buffer
    .group_segment_fixed_size: 0
    .kernarg_segment_align: 8
    .kernarg_segment_size: 104
    .language:       OpenCL C
    .language_version:
      - 2
      - 0
    .max_flat_workgroup_size: 130
    .name:           fft_rtc_back_len1625_factors_13_5_5_5_wgs_130_tpt_65_halfLds_sp_op_CI_CI_unitstride_sbrr_dirReg
    .private_segment_fixed_size: 0
    .sgpr_count:     29
    .sgpr_spill_count: 0
    .symbol:         fft_rtc_back_len1625_factors_13_5_5_5_wgs_130_tpt_65_halfLds_sp_op_CI_CI_unitstride_sbrr_dirReg.kd
    .uniform_work_group_size: 1
    .uses_dynamic_stack: false
    .vgpr_count:     130
    .vgpr_spill_count: 0
    .wavefront_size: 32
    .workgroup_processor_mode: 1
amdhsa.target:   amdgcn-amd-amdhsa--gfx1030
amdhsa.version:
  - 1
  - 2
...

	.end_amdgpu_metadata
